;; amdgpu-corpus repo=ROCm/rocFFT kind=compiled arch=gfx1030 opt=O3
	.text
	.amdgcn_target "amdgcn-amd-amdhsa--gfx1030"
	.amdhsa_code_object_version 6
	.protected	bluestein_single_fwd_len1694_dim1_sp_op_CI_CI ; -- Begin function bluestein_single_fwd_len1694_dim1_sp_op_CI_CI
	.globl	bluestein_single_fwd_len1694_dim1_sp_op_CI_CI
	.p2align	8
	.type	bluestein_single_fwd_len1694_dim1_sp_op_CI_CI,@function
bluestein_single_fwd_len1694_dim1_sp_op_CI_CI: ; @bluestein_single_fwd_len1694_dim1_sp_op_CI_CI
; %bb.0:
	s_load_dwordx4 s[12:15], s[4:5], 0x28
	v_mul_u32_u24_e32 v1, 0x1aa, v0
	v_mov_b32_e32 v69, 0
	s_mov_b32 s0, exec_lo
	v_lshrrev_b32_e32 v1, 16, v1
	v_add_nc_u32_e32 v68, s6, v1
	s_waitcnt lgkmcnt(0)
	v_cmpx_gt_u64_e64 s[12:13], v[68:69]
	s_cbranch_execz .LBB0_18
; %bb.1:
	s_clause 0x1
	s_load_dwordx4 s[8:11], s[4:5], 0x18
	s_load_dwordx4 s[0:3], s[4:5], 0x0
	v_mul_lo_u16 v1, 0x9a, v1
	s_load_dwordx2 s[12:13], s[4:5], 0x38
	v_sub_nc_u16 v22, v0, v1
	v_and_b32_e32 v110, 0xffff, v22
	v_lshlrev_b32_e32 v109, 3, v110
	s_waitcnt lgkmcnt(0)
	s_load_dwordx4 s[16:19], s[8:9], 0x0
	s_clause 0x1
	global_load_dwordx2 v[69:70], v109, s[0:1]
	global_load_dwordx2 v[71:72], v109, s[0:1] offset:1232
	v_add_co_u32 v112, s6, s0, v109
	v_add_co_ci_u32_e64 v111, null, s1, 0, s6
	v_add_co_u32 v0, vcc_lo, 0x800, v112
	v_add_co_ci_u32_e32 v1, vcc_lo, 0, v111, vcc_lo
	v_add_co_u32 v4, vcc_lo, 0x1000, v112
	v_add_co_ci_u32_e32 v5, vcc_lo, 0, v111, vcc_lo
	;; [unrolled: 2-line block ×3, first 2 shown]
	s_waitcnt lgkmcnt(0)
	v_mad_u64_u32 v[2:3], null, s18, v68, 0
	v_mad_u64_u32 v[8:9], null, s16, v110, 0
	v_add_co_u32 v10, vcc_lo, 0x2000, v112
	v_add_co_ci_u32_e32 v11, vcc_lo, 0, v111, vcc_lo
	v_mad_u64_u32 v[12:13], null, s19, v68, v[3:4]
	v_mov_b32_e32 v3, v9
	v_add_co_u32 v13, vcc_lo, 0x2800, v112
	s_clause 0x1
	global_load_dwordx2 v[89:90], v[0:1], off offset:416
	global_load_dwordx2 v[85:86], v[0:1], off offset:1648
	v_add_co_ci_u32_e32 v14, vcc_lo, 0, v111, vcc_lo
	v_mad_u64_u32 v[15:16], null, s17, v110, v[3:4]
	v_mov_b32_e32 v3, v12
	v_add_co_u32 v91, vcc_lo, 0x3000, v112
	v_add_co_ci_u32_e32 v92, vcc_lo, 0, v111, vcc_lo
	v_lshlrev_b64 v[0:1], 3, v[2:3]
	v_mov_b32_e32 v9, v15
	s_mul_i32 s0, s17, 0x4d0
	s_mul_hi_u32 s1, s16, 0x4d0
	s_mul_i32 s6, s16, 0x4d0
	s_add_i32 s1, s1, s0
	v_lshlrev_b64 v[2:3], 3, v[8:9]
	v_add_co_u32 v0, vcc_lo, s14, v0
	v_add_co_ci_u32_e32 v1, vcc_lo, s15, v1, vcc_lo
	global_load_dwordx2 v[87:88], v[4:5], off offset:832
	v_add_co_u32 v0, vcc_lo, v0, v2
	v_add_co_ci_u32_e32 v1, vcc_lo, v1, v3, vcc_lo
	s_clause 0x1
	global_load_dwordx2 v[83:84], v[6:7], off offset:16
	global_load_dwordx2 v[75:76], v[6:7], off offset:1248
	v_add_co_u32 v2, vcc_lo, v0, s6
	v_add_co_ci_u32_e32 v3, vcc_lo, s1, v1, vcc_lo
	s_clause 0x1
	global_load_dwordx2 v[77:78], v[10:11], off offset:432
	global_load_dwordx2 v[73:74], v[10:11], off offset:1664
	v_add_co_u32 v4, vcc_lo, v2, s6
	v_add_co_ci_u32_e32 v5, vcc_lo, s1, v3, vcc_lo
	s_clause 0x1
	global_load_dwordx2 v[0:1], v[0:1], off
	global_load_dwordx2 v[2:3], v[2:3], off
	v_add_co_u32 v6, vcc_lo, v4, s6
	v_add_co_ci_u32_e32 v7, vcc_lo, s1, v5, vcc_lo
	global_load_dwordx2 v[4:5], v[4:5], off
	v_add_co_u32 v8, vcc_lo, v6, s6
	v_add_co_ci_u32_e32 v9, vcc_lo, s1, v7, vcc_lo
	s_clause 0x1
	global_load_dwordx2 v[15:16], v[6:7], off
	global_load_dwordx2 v[17:18], v[8:9], off
	v_add_co_u32 v10, vcc_lo, v8, s6
	v_add_co_ci_u32_e32 v11, vcc_lo, s1, v9, vcc_lo
	v_add_co_u32 v6, vcc_lo, v10, s6
	v_add_co_ci_u32_e32 v7, vcc_lo, s1, v11, vcc_lo
	global_load_dwordx2 v[10:11], v[10:11], off
	v_add_co_u32 v8, vcc_lo, v6, s6
	v_add_co_ci_u32_e32 v9, vcc_lo, s1, v7, vcc_lo
	global_load_dwordx2 v[19:20], v[6:7], off
	;; [unrolled: 3-line block ×4, first 2 shown]
	v_add_co_u32 v6, vcc_lo, v8, s6
	v_add_co_ci_u32_e32 v7, vcc_lo, s1, v9, vcc_lo
	global_load_dwordx2 v[79:80], v[13:14], off offset:848
	global_load_dwordx2 v[12:13], v[8:9], off
	global_load_dwordx2 v[81:82], v[91:92], off offset:32
	global_load_dwordx2 v[27:28], v[6:7], off
	v_add_nc_u32_e32 v6, 0x800, v109
	v_add_nc_u32_e32 v8, 0x1200, v109
	;; [unrolled: 1-line block ×3, first 2 shown]
	s_load_dwordx4 s[8:11], s[10:11], 0x0
	v_cmp_gt_u16_e32 vcc_lo, 0x4d, v22
	s_waitcnt vmcnt(12)
	v_mul_f32_e32 v29, v1, v70
	s_waitcnt vmcnt(11)
	v_mul_f32_e32 v31, v3, v72
	v_mul_f32_e32 v7, v0, v70
	;; [unrolled: 1-line block ×3, first 2 shown]
	v_fmac_f32_e32 v29, v0, v69
	v_fmac_f32_e32 v31, v2, v71
	s_waitcnt vmcnt(10)
	v_mul_f32_e32 v0, v5, v90
	v_fma_f32 v30, v1, v69, -v7
	v_fma_f32 v32, v3, v71, -v14
	v_mul_f32_e32 v1, v4, v90
	v_add_nc_u32_e32 v7, 0x2400, v109
	s_waitcnt vmcnt(9)
	v_mul_f32_e32 v2, v16, v86
	v_mul_f32_e32 v3, v15, v86
	v_fmac_f32_e32 v0, v4, v89
	s_waitcnt vmcnt(8)
	v_mul_f32_e32 v4, v18, v88
	v_fma_f32 v1, v5, v89, -v1
	v_fmac_f32_e32 v2, v15, v85
	v_mul_f32_e32 v5, v17, v88
	v_fma_f32 v3, v16, v85, -v3
	v_fmac_f32_e32 v4, v17, v87
	ds_write2_b64 v109, v[29:30], v[31:32] offset1:154
	v_add_nc_u32_e32 v29, 0x1e00, v109
	s_waitcnt vmcnt(7)
	v_mul_f32_e32 v14, v11, v84
	v_mul_f32_e32 v15, v10, v84
	v_fma_f32 v5, v18, v87, -v5
	v_add_nc_u32_e32 v30, 0x2800, v109
	v_fmac_f32_e32 v14, v10, v83
	s_waitcnt vmcnt(6)
	v_mul_f32_e32 v10, v20, v76
	v_fma_f32 v15, v11, v83, -v15
	v_mul_f32_e32 v11, v19, v76
	s_waitcnt vmcnt(5)
	v_mul_f32_e32 v16, v24, v78
	v_mul_f32_e32 v17, v23, v78
	v_fmac_f32_e32 v10, v19, v75
	v_fma_f32 v11, v20, v75, -v11
	s_waitcnt vmcnt(4)
	v_mul_f32_e32 v18, v26, v74
	v_mul_f32_e32 v19, v25, v74
	v_fmac_f32_e32 v16, v23, v77
	s_waitcnt vmcnt(2)
	v_mul_f32_e32 v20, v13, v80
	v_mul_f32_e32 v21, v12, v80
	v_fma_f32 v17, v24, v77, -v17
	s_waitcnt vmcnt(0)
	v_mul_f32_e32 v23, v28, v82
	v_mul_f32_e32 v24, v27, v82
	v_fmac_f32_e32 v18, v25, v73
	v_fma_f32 v19, v26, v73, -v19
	v_fmac_f32_e32 v20, v12, v79
	v_fma_f32 v21, v13, v79, -v21
	;; [unrolled: 2-line block ×3, first 2 shown]
	ds_write2_b64 v6, v[0:1], v[2:3] offset0:52 offset1:206
	ds_write2_b64 v8, v[4:5], v[14:15] offset0:40 offset1:194
	;; [unrolled: 1-line block ×4, first 2 shown]
	ds_write_b64 v109, v[23:24] offset:12320
	s_waitcnt lgkmcnt(0)
	s_barrier
	buffer_gl0_inv
	ds_read2_b64 v[0:3], v109 offset1:154
	ds_read_b64 v[4:5], v109 offset:12320
	v_mov_b32_e32 v24, 3
	v_mul_lo_u16 v18, v22, 11
	ds_read2_b64 v[10:13], v8 offset0:40 offset1:194
	ds_read2_b64 v[14:17], v9 offset0:28 offset1:182
	v_add_nc_u32_e32 v23, 0x1300, v109
                                        ; implicit-def: $vgpr22
	v_lshlrev_b32_sdwa v113, v24, v18 dst_sel:DWORD dst_unused:UNUSED_PAD src0_sel:DWORD src1_sel:WORD_0
	ds_read2_b64 v[18:21], v6 offset0:52 offset1:206
	ds_read2_b64 v[25:28], v7 offset0:80 offset1:234
	s_waitcnt lgkmcnt(0)
	s_barrier
	buffer_gl0_inv
	v_add_f32_e32 v7, v0, v2
	v_add_f32_e32 v8, v1, v3
	;; [unrolled: 1-line block ×4, first 2 shown]
	v_sub_f32_e32 v2, v2, v4
	v_sub_f32_e32 v3, v3, v5
	;; [unrolled: 1-line block ×4, first 2 shown]
	v_add_f32_e32 v7, v7, v18
	v_add_f32_e32 v8, v8, v19
	v_sub_f32_e32 v38, v12, v14
	v_sub_f32_e32 v39, v13, v15
	v_add_f32_e32 v40, v27, v18
	v_add_f32_e32 v41, v28, v19
	v_sub_f32_e32 v42, v18, v27
	v_sub_f32_e32 v43, v19, v28
	;; [unrolled: 1-line block ×4, first 2 shown]
	v_mul_f32_e32 v18, 0xbf0a6770, v3
	v_mul_f32_e32 v19, 0xbf0a6770, v2
	;; [unrolled: 1-line block ×10, first 2 shown]
	v_add_f32_e32 v7, v7, v20
	v_add_f32_e32 v8, v8, v21
	;; [unrolled: 1-line block ×8, first 2 shown]
	v_mul_f32_e32 v54, 0xbf68dda4, v43
	v_mul_f32_e32 v55, 0xbf68dda4, v42
	;; [unrolled: 1-line block ×40, first 2 shown]
	v_fma_f32 v116, 0x3f575c64, v9, -v18
	v_fmamk_f32 v117, v31, 0x3f575c64, v19
	v_fmac_f32_e32 v18, 0x3f575c64, v9
	v_fma_f32 v19, 0x3f575c64, v31, -v19
	v_fma_f32 v118, 0x3ed4b147, v9, -v48
	v_fmamk_f32 v119, v31, 0x3ed4b147, v49
	v_fmac_f32_e32 v48, 0x3ed4b147, v9
	v_fma_f32 v49, 0x3ed4b147, v31, -v49
	;; [unrolled: 4-line block ×4, first 2 shown]
	v_fma_f32 v124, 0xbf75a155, v9, -v3
	v_fmac_f32_e32 v3, 0xbf75a155, v9
	v_fmamk_f32 v9, v31, 0xbf75a155, v2
	v_fma_f32 v2, 0xbf75a155, v31, -v2
	v_add_f32_e32 v7, v7, v10
	v_add_f32_e32 v8, v8, v11
	v_fma_f32 v20, 0x3ed4b147, v40, -v54
	v_fmamk_f32 v21, v41, 0x3ed4b147, v55
	v_fma_f32 v31, 0xbe11bafb, v44, -v56
	v_fmamk_f32 v125, v45, 0xbe11bafb, v57
	v_fma_f32 v126, 0xbf27a4f4, v32, -v58
	v_fmamk_f32 v127, v33, 0xbf27a4f4, v59
	v_fma_f32 v128, 0xbf75a155, v36, -v60
	v_fmamk_f32 v129, v37, 0xbf75a155, v61
	v_fmac_f32_e32 v54, 0x3ed4b147, v40
	v_fma_f32 v55, 0x3ed4b147, v41, -v55
	v_fmac_f32_e32 v56, 0xbe11bafb, v44
	v_fma_f32 v57, 0xbe11bafb, v45, -v57
	;; [unrolled: 2-line block ×4, first 2 shown]
	v_fma_f32 v130, 0xbf27a4f4, v40, -v62
	v_fmamk_f32 v131, v41, 0xbf27a4f4, v63
	v_fma_f32 v132, 0xbf75a155, v44, -v64
	v_fmamk_f32 v133, v45, 0xbf75a155, v65
	;; [unrolled: 2-line block ×4, first 2 shown]
	v_fmac_f32_e32 v62, 0xbf27a4f4, v40
	v_fma_f32 v63, 0xbf27a4f4, v41, -v63
	v_fmac_f32_e32 v64, 0xbf75a155, v44
	v_fma_f32 v65, 0xbf75a155, v45, -v65
	;; [unrolled: 2-line block ×4, first 2 shown]
	v_fma_f32 v138, 0xbf75a155, v40, -v95
	v_fmamk_f32 v139, v41, 0xbf75a155, v96
	v_fma_f32 v140, 0x3ed4b147, v44, -v97
	v_fmamk_f32 v141, v45, 0x3ed4b147, v98
	;; [unrolled: 2-line block ×4, first 2 shown]
	v_fmac_f32_e32 v95, 0xbf75a155, v40
	v_fma_f32 v146, 0xbe11bafb, v40, -v103
	v_fmac_f32_e32 v103, 0xbe11bafb, v40
	v_fma_f32 v147, 0x3f575c64, v40, -v43
	v_fmac_f32_e32 v43, 0x3f575c64, v40
	v_fma_f32 v40, 0xbf75a155, v41, -v96
	v_fmamk_f32 v96, v41, 0xbe11bafb, v104
	v_fma_f32 v104, 0xbe11bafb, v41, -v104
	v_fmamk_f32 v148, v41, 0x3f575c64, v42
	v_fma_f32 v41, 0x3f575c64, v41, -v42
	v_fmac_f32_e32 v97, 0x3ed4b147, v44
	v_fma_f32 v42, 0x3f575c64, v44, -v105
	v_fmac_f32_e32 v105, 0x3f575c64, v44
	v_fma_f32 v149, 0xbf27a4f4, v44, -v47
	v_fmac_f32_e32 v47, 0xbf27a4f4, v44
	v_fma_f32 v44, 0x3ed4b147, v45, -v98
	v_fmamk_f32 v98, v45, 0x3f575c64, v106
	v_fma_f32 v106, 0x3f575c64, v45, -v106
	v_fmamk_f32 v150, v45, 0xbf27a4f4, v46
	v_fma_f32 v45, 0xbf27a4f4, v45, -v46
	;; [unrolled: 10-line block ×4, first 2 shown]
	v_add_f32_e32 v38, v0, v116
	v_add_f32_e32 v116, v1, v117
	;; [unrolled: 1-line block ×110, first 2 shown]
	ds_write2_b64 v113, v[2:3], v[9:10] offset0:2 offset1:3
	v_add_f32_e32 v2, v19, v4
	v_add_f32_e32 v3, v27, v5
	ds_write2_b64 v113, v[13:14], v[17:18] offset0:4 offset1:5
	ds_write2_b64 v113, v[25:26], v[15:16] offset0:6 offset1:7
	;; [unrolled: 1-line block ×3, first 2 shown]
	ds_write_b64 v113, v[20:21] offset:80
	ds_write2_b64 v113, v[2:3], v[0:1] offset1:1
	s_waitcnt lgkmcnt(0)
	s_barrier
	buffer_gl0_inv
	ds_read2_b64 v[8:11], v109 offset1:154
	ds_read2_b64 v[0:3], v23 offset0:8 offset1:239
	ds_read2_b64 v[12:15], v29 offset0:41 offset1:195
	;; [unrolled: 1-line block ×4, first 2 shown]
	s_and_saveexec_b32 s0, vcc_lo
	s_cbranch_execz .LBB0_3
; %bb.2:
	ds_read_b64 v[20:21], v109 offset:6160
	ds_read_b64 v[22:23], v109 offset:12936
.LBB0_3:
	s_or_b32 exec_lo, exec_lo, s0
	v_and_b32_e32 v25, 0xff, v110
	v_add_co_u32 v26, null, 0x268, v110
	v_mov_b32_e32 v27, 0xba2f
	v_add_nc_u16 v30, v110, 0x302
	v_mul_lo_u16 v25, 0x75, v25
	v_add_co_u32 v33, null, 0x134, v110
	v_mul_u32_u24_sdwa v31, v26, v27 dst_sel:DWORD dst_unused:UNUSED_PAD src0_sel:WORD_0 src1_sel:DWORD
	v_mul_u32_u24_sdwa v32, v30, v27 dst_sel:DWORD dst_unused:UNUSED_PAD src0_sel:WORD_0 src1_sel:DWORD
	v_lshrrev_b16 v25, 8, v25
	v_add_co_u32 v28, null, 0x9a, v110
	v_lshrrev_b32_e32 v31, 19, v31
	v_lshrrev_b32_e32 v114, 19, v32
	v_sub_nc_u16 v29, v110, v25
	v_add_co_u32 v32, null, 0x1ce, v110
	v_mul_lo_u16 v34, v31, 11
	v_mul_lo_u16 v35, v114, 11
	v_lshrrev_b16 v29, 1, v29
	v_mul_u32_u24_sdwa v36, v33, v27 dst_sel:DWORD dst_unused:UNUSED_PAD src0_sel:WORD_0 src1_sel:DWORD
	v_sub_nc_u16 v26, v26, v34
	v_sub_nc_u16 v115, v30, v35
	v_and_b32_e32 v29, 0x7f, v29
	v_lshrrev_b32_e32 v35, 19, v36
	v_lshlrev_b32_sdwa v30, v24, v26 dst_sel:DWORD dst_unused:UNUSED_PAD src0_sel:DWORD src1_sel:WORD_0
	v_lshlrev_b32_sdwa v36, v24, v115 dst_sel:DWORD dst_unused:UNUSED_PAD src0_sel:DWORD src1_sel:WORD_0
	v_add_nc_u16 v25, v29, v25
	v_mul_u32_u24_sdwa v29, v28, v27 dst_sel:DWORD dst_unused:UNUSED_PAD src0_sel:WORD_0 src1_sel:DWORD
	v_mul_u32_u24_sdwa v27, v32, v27 dst_sel:DWORD dst_unused:UNUSED_PAD src0_sel:WORD_0 src1_sel:DWORD
	s_clause 0x1
	global_load_dwordx2 v[95:96], v30, s[2:3]
	global_load_dwordx2 v[93:94], v36, s[2:3]
	v_lshrrev_b16 v25, 3, v25
	v_lshrrev_b32_e32 v29, 19, v29
	v_lshrrev_b32_e32 v27, 19, v27
	v_mul_lo_u16 v36, v35, 11
	v_mad_u16 v26, v31, 22, v26
	v_mul_lo_u16 v34, v25, 11
	v_mul_lo_u16 v37, v27, 11
	v_sub_nc_u16 v33, v33, v36
	v_lshlrev_b32_sdwa v116, v24, v26 dst_sel:DWORD dst_unused:UNUSED_PAD src0_sel:DWORD src1_sel:WORD_0
	v_sub_nc_u16 v30, v110, v34
	v_mul_lo_u16 v34, v29, 11
	v_sub_nc_u16 v32, v32, v37
	v_lshlrev_b32_sdwa v38, v24, v33 dst_sel:DWORD dst_unused:UNUSED_PAD src0_sel:DWORD src1_sel:WORD_0
	v_mad_u16 v33, v35, 22, v33
	v_and_b32_e32 v30, 0xff, v30
	v_sub_nc_u16 v34, v28, v34
	v_mad_u16 v27, v27, 22, v32
	v_lshlrev_b32_sdwa v118, v24, v33 dst_sel:DWORD dst_unused:UNUSED_PAD src0_sel:DWORD src1_sel:WORD_0
	v_lshlrev_b32_e32 v36, 3, v30
	v_lshlrev_b32_sdwa v37, v24, v34 dst_sel:DWORD dst_unused:UNUSED_PAD src0_sel:DWORD src1_sel:WORD_0
	v_mad_u16 v29, v29, 22, v34
	v_lshlrev_b32_sdwa v117, v24, v27 dst_sel:DWORD dst_unused:UNUSED_PAD src0_sel:DWORD src1_sel:WORD_0
	global_load_dwordx2 v[103:104], v36, s[2:3]
	v_lshlrev_b32_sdwa v36, v24, v32 dst_sel:DWORD dst_unused:UNUSED_PAD src0_sel:DWORD src1_sel:WORD_0
	v_lshlrev_b32_sdwa v119, v24, v29 dst_sel:DWORD dst_unused:UNUSED_PAD src0_sel:DWORD src1_sel:WORD_0
	s_clause 0x2
	global_load_dwordx2 v[101:102], v37, s[2:3]
	global_load_dwordx2 v[99:100], v38, s[2:3]
	;; [unrolled: 1-line block ×3, first 2 shown]
	v_mov_b32_e32 v36, 22
	s_waitcnt vmcnt(0) lgkmcnt(0)
	s_barrier
	buffer_gl0_inv
	v_mul_u32_u24_sdwa v25, v25, v36 dst_sel:DWORD dst_unused:UNUSED_PAD src0_sel:WORD_0 src1_sel:DWORD
	v_add_lshl_u32 v120, v25, v30, 3
	v_mul_f32_e32 v25, v18, v96
	v_mul_f32_e32 v26, v23, v94
	;; [unrolled: 1-line block ×4, first 2 shown]
	v_fmac_f32_e32 v25, v19, v95
	v_fma_f32 v22, v22, v93, -v26
	v_fmac_f32_e32 v27, v23, v93
	v_fma_f32 v18, v18, v95, -v24
	v_sub_f32_e32 v19, v1, v25
	v_sub_f32_e32 v44, v20, v22
	;; [unrolled: 1-line block ×4, first 2 shown]
	v_fma_f32 v1, v1, 2.0, -v19
	v_fma_f32 v0, v0, 2.0, -v18
	v_mul_f32_e32 v22, v3, v104
	v_mul_f32_e32 v23, v2, v104
	;; [unrolled: 1-line block ×8, first 2 shown]
	v_fma_f32 v2, v2, v103, -v22
	v_fmac_f32_e32 v23, v3, v103
	v_fma_f32 v12, v12, v101, -v24
	v_fmac_f32_e32 v25, v13, v101
	;; [unrolled: 2-line block ×4, first 2 shown]
	v_sub_f32_e32 v2, v8, v2
	v_sub_f32_e32 v3, v9, v23
	;; [unrolled: 1-line block ×8, first 2 shown]
	v_fma_f32 v8, v8, 2.0, -v2
	v_fma_f32 v9, v9, 2.0, -v3
	;; [unrolled: 1-line block ×8, first 2 shown]
	ds_write2_b64 v120, v[8:9], v[2:3] offset1:11
	ds_write2_b64 v119, v[10:11], v[12:13] offset1:11
	;; [unrolled: 1-line block ×5, first 2 shown]
	s_and_saveexec_b32 s0, vcc_lo
	s_cbranch_execz .LBB0_5
; %bb.4:
	v_mad_u16 v2, v114, 22, v115
	v_mov_b32_e32 v3, 3
	v_fma_f32 v1, v21, 2.0, -v45
	v_fma_f32 v0, v20, 2.0, -v44
	v_lshlrev_b32_sdwa v2, v3, v2 dst_sel:DWORD dst_unused:UNUSED_PAD src0_sel:DWORD src1_sel:WORD_0
	ds_write2_b64 v2, v[0:1], v[44:45] offset1:11
.LBB0_5:
	s_or_b32 exec_lo, exec_lo, s0
	v_lshrrev_b16 v0, 1, v110
	s_waitcnt lgkmcnt(0)
	s_barrier
	buffer_gl0_inv
	v_add_nc_u32_e32 v24, 0x800, v109
	v_and_b32_e32 v0, 0x7f, v0
	v_add_nc_u32_e32 v30, 0x1200, v109
	v_add_nc_u32_e32 v34, 0x1c00, v109
	v_mov_b32_e32 v39, 0xf2
	v_add_nc_u32_e32 v40, 0x2400, v109
	v_mul_lo_u16 v0, 0xbb, v0
	v_add_nc_u32_e32 v122, 0xf00, v109
	v_add_nc_u32_e32 v123, 0x1e00, v109
	v_cmp_gt_u16_e64 s0, 0x58, v110
	v_lshrrev_b16 v38, 11, v0
	v_mul_lo_u16 v0, v38, 22
	v_mul_u32_u24_sdwa v46, v38, v39 dst_sel:DWORD dst_unused:UNUSED_PAD src0_sel:WORD_0 src1_sel:DWORD
	v_sub_nc_u16 v0, v110, v0
	v_and_b32_e32 v29, 0xff, v0
	v_mad_u64_u32 v[8:9], null, 0x50, v29, s[2:3]
	v_add_lshl_u32 v121, v46, v29, 3
	s_clause 0x4
	global_load_dwordx4 v[16:19], v[8:9], off offset:88
	global_load_dwordx4 v[12:15], v[8:9], off offset:104
	;; [unrolled: 1-line block ×5, first 2 shown]
	ds_read2_b64 v[20:23], v109 offset1:154
	ds_read2_b64 v[24:27], v24 offset0:52 offset1:206
	ds_read2_b64 v[30:33], v30 offset0:40 offset1:194
	ds_read2_b64 v[34:37], v34 offset0:28 offset1:182
	ds_read_b64 v[42:43], v109 offset:12320
	ds_read2_b64 v[38:41], v40 offset0:80 offset1:234
	s_waitcnt vmcnt(0) lgkmcnt(0)
	s_barrier
	buffer_gl0_inv
	v_mul_f32_e32 v29, v23, v17
	v_mul_f32_e32 v46, v22, v17
	;; [unrolled: 1-line block ×13, first 2 shown]
	v_fma_f32 v22, v22, v16, -v29
	v_fmac_f32_e32 v46, v23, v16
	v_mul_f32_e32 v51, v31, v15
	v_mul_f32_e32 v56, v34, v7
	;; [unrolled: 1-line block ×7, first 2 shown]
	v_fma_f32 v23, v24, v18, -v47
	v_fmac_f32_e32 v48, v25, v18
	v_fma_f32 v24, v26, v12, -v49
	v_fmac_f32_e32 v50, v27, v12
	v_fmac_f32_e32 v52, v31, v14
	v_fma_f32 v26, v32, v4, -v53
	v_fmac_f32_e32 v54, v33, v4
	v_fma_f32 v27, v34, v6, -v55
	v_fma_f32 v31, v40, v8, -v61
	v_fma_f32 v33, v42, v10, -v63
	v_fmac_f32_e32 v64, v43, v10
	v_add_f32_e32 v32, v20, v22
	v_add_f32_e32 v34, v21, v46
	v_fma_f32 v25, v30, v14, -v51
	v_fmac_f32_e32 v56, v35, v6
	v_fma_f32 v29, v36, v0, -v57
	v_fmac_f32_e32 v58, v37, v0
	;; [unrolled: 2-line block ×3, first 2 shown]
	v_fmac_f32_e32 v62, v41, v8
	v_add_f32_e32 v35, v22, v33
	v_sub_f32_e32 v22, v22, v33
	v_sub_f32_e32 v37, v46, v64
	v_add_f32_e32 v38, v23, v31
	v_sub_f32_e32 v40, v23, v31
	v_add_f32_e32 v23, v32, v23
	v_add_f32_e32 v32, v34, v48
	;; [unrolled: 1-line block ×4, first 2 shown]
	v_sub_f32_e32 v41, v48, v62
	v_add_f32_e32 v42, v24, v30
	v_sub_f32_e32 v46, v24, v30
	v_sub_f32_e32 v47, v50, v60
	;; [unrolled: 1-line block ×6, first 2 shown]
	v_mul_f32_e32 v34, 0xbf0a6770, v37
	v_mul_f32_e32 v48, 0xbf0a6770, v22
	;; [unrolled: 1-line block ×9, first 2 shown]
	v_add_f32_e32 v23, v23, v24
	v_add_f32_e32 v24, v32, v50
	v_mul_f32_e32 v37, 0xbe903f40, v37
	v_add_f32_e32 v43, v50, v60
	v_add_f32_e32 v49, v25, v29
	;; [unrolled: 1-line block ×5, first 2 shown]
	v_mul_f32_e32 v108, 0xbf68dda4, v41
	v_mul_f32_e32 v124, 0xbf68dda4, v40
	;; [unrolled: 1-line block ×40, first 2 shown]
	v_fma_f32 v32, 0x3f575c64, v35, -v34
	v_fmamk_f32 v50, v36, 0x3f575c64, v48
	v_fmac_f32_e32 v34, 0x3f575c64, v35
	v_fma_f32 v48, 0x3f575c64, v36, -v48
	v_fma_f32 v155, 0x3ed4b147, v35, -v65
	v_fmamk_f32 v156, v36, 0x3ed4b147, v66
	v_fmac_f32_e32 v65, 0x3ed4b147, v35
	v_fma_f32 v66, 0x3ed4b147, v36, -v66
	v_fma_f32 v157, 0xbe11bafb, v35, -v67
	v_fmamk_f32 v158, v36, 0xbe11bafb, v105
	v_fma_f32 v105, 0xbe11bafb, v36, -v105
	v_fma_f32 v159, 0xbf27a4f4, v35, -v106
	v_fmamk_f32 v160, v36, 0xbf27a4f4, v107
	v_fma_f32 v107, 0xbf27a4f4, v36, -v107
	v_fmamk_f32 v162, v36, 0xbf75a155, v22
	v_fma_f32 v22, 0xbf75a155, v36, -v22
	v_add_f32_e32 v23, v23, v25
	v_add_f32_e32 v24, v24, v52
	v_fmac_f32_e32 v67, 0xbe11bafb, v35
	v_fmac_f32_e32 v106, 0xbf27a4f4, v35
	v_fma_f32 v161, 0xbf75a155, v35, -v37
	v_fmac_f32_e32 v37, 0xbf75a155, v35
	v_fma_f32 v35, 0x3ed4b147, v38, -v108
	v_fmamk_f32 v36, v39, 0x3ed4b147, v124
	v_fmac_f32_e32 v108, 0x3ed4b147, v38
	v_fma_f32 v124, 0x3ed4b147, v39, -v124
	v_fma_f32 v163, 0xbf27a4f4, v38, -v125
	v_fmamk_f32 v164, v39, 0xbf27a4f4, v126
	v_fmac_f32_e32 v125, 0xbf27a4f4, v38
	v_fma_f32 v126, 0xbf27a4f4, v39, -v126
	;; [unrolled: 4-line block ×10, first 2 shown]
	v_fma_f32 v43, 0xbf27a4f4, v49, -v139
	v_fmac_f32_e32 v139, 0xbf27a4f4, v49
	v_fma_f32 v46, 0xbe11bafb, v49, -v140
	v_fmac_f32_e32 v140, 0xbe11bafb, v49
	;; [unrolled: 2-line block ×5, first 2 shown]
	v_fmamk_f32 v49, v55, 0xbf27a4f4, v143
	v_fma_f32 v143, 0xbf27a4f4, v55, -v143
	v_fmamk_f32 v182, v55, 0xbe11bafb, v144
	v_fma_f32 v144, 0xbe11bafb, v55, -v144
	;; [unrolled: 2-line block ×5, first 2 shown]
	v_fma_f32 v55, 0xbf75a155, v59, -v147
	v_fmac_f32_e32 v147, 0xbf75a155, v59
	v_fma_f32 v186, 0x3f575c64, v59, -v148
	v_fmac_f32_e32 v148, 0x3f575c64, v59
	;; [unrolled: 2-line block ×5, first 2 shown]
	v_fmamk_f32 v59, v63, 0xbf75a155, v57
	v_fma_f32 v57, 0xbf75a155, v63, -v57
	v_fmamk_f32 v190, v63, 0x3f575c64, v152
	v_fma_f32 v152, 0x3f575c64, v63, -v152
	;; [unrolled: 2-line block ×5, first 2 shown]
	v_add_f32_e32 v32, v20, v32
	v_add_f32_e32 v50, v21, v50
	;; [unrolled: 1-line block ×110, first 2 shown]
	ds_write2_b64 v121, v[22:23], v[24:25] offset0:44 offset1:66
	v_add_f32_e32 v22, v34, v33
	v_add_f32_e32 v23, v35, v64
	ds_write2_b64 v121, v[26:27], v[29:30] offset0:88 offset1:110
	ds_write2_b64 v121, v[31:32], v[48:49] offset0:132 offset1:154
	;; [unrolled: 1-line block ×3, first 2 shown]
	ds_write_b64 v121, v[58:59] offset:1760
	ds_write2_b64 v121, v[22:23], v[20:21] offset1:22
	s_waitcnt lgkmcnt(0)
	s_barrier
	buffer_gl0_inv
	ds_read2_b64 v[52:55], v109 offset1:242
	ds_read2_b64 v[64:67], v122 offset0:4 offset1:246
	ds_read2_b64 v[60:63], v123 offset0:8 offset1:250
	ds_read_b64 v[107:108], v109 offset:11616
                                        ; implicit-def: $vgpr105
	s_and_saveexec_b32 s1, s0
	s_cbranch_execz .LBB0_7
; %bb.6:
	v_add_nc_u32_e32 v20, 0x480, v109
	v_add_nc_u32_e32 v21, 0x13c0, v109
	v_add_nc_u32_e32 v22, 0x2300, v109
	ds_read2_b64 v[48:51], v20 offset0:10 offset1:252
	ds_read2_b64 v[56:59], v21 offset0:6 offset1:248
	;; [unrolled: 1-line block ×3, first 2 shown]
	ds_read_b64 v[105:106], v109 offset:12848
.LBB0_7:
	s_or_b32 exec_lo, exec_lo, s1
	v_mad_u64_u32 v[20:21], null, v110, 48, s[2:3]
	s_clause 0x2
	global_load_dwordx4 v[40:43], v[20:21], off offset:1848
	global_load_dwordx4 v[36:39], v[20:21], off offset:1864
	;; [unrolled: 1-line block ×3, first 2 shown]
	v_add_nc_u32_e32 v20, 0xffffffa8, v110
	v_cndmask_b32_e64 v20, v20, v28, s0
	v_mul_i32_i24_e32 v21, 48, v20
	v_mul_hi_i32_i24_e32 v20, 48, v20
	v_add_co_u32 v28, s1, s2, v21
	v_add_co_ci_u32_e64 v29, s1, s3, v20, s1
	s_clause 0x2
	global_load_dwordx4 v[24:27], v[28:29], off offset:1848
	global_load_dwordx4 v[20:23], v[28:29], off offset:1864
	;; [unrolled: 1-line block ×3, first 2 shown]
	s_waitcnt vmcnt(5) lgkmcnt(3)
	v_mul_f32_e32 v124, v55, v41
	v_mul_f32_e32 v125, v54, v41
	s_waitcnt lgkmcnt(2)
	v_mul_f32_e32 v126, v65, v43
	v_mul_f32_e32 v127, v64, v43
	s_waitcnt vmcnt(4)
	v_mul_f32_e32 v128, v67, v37
	v_mul_f32_e32 v129, v66, v37
	s_waitcnt lgkmcnt(1)
	v_mul_f32_e32 v130, v61, v39
	v_mul_f32_e32 v131, v60, v39
	s_waitcnt vmcnt(3)
	v_mul_f32_e32 v132, v63, v33
	v_mul_f32_e32 v133, v62, v33
	s_waitcnt lgkmcnt(0)
	v_mul_f32_e32 v134, v108, v35
	v_mul_f32_e32 v135, v107, v35
	v_fma_f32 v54, v54, v40, -v124
	v_fmac_f32_e32 v125, v55, v40
	v_fma_f32 v55, v64, v42, -v126
	v_fmac_f32_e32 v127, v65, v42
	;; [unrolled: 2-line block ×3, first 2 shown]
	v_fma_f32 v60, v60, v38, -v130
	v_fma_f32 v65, v107, v34, -v134
	v_fmac_f32_e32 v135, v108, v34
	v_fmac_f32_e32 v131, v61, v38
	v_fma_f32 v61, v62, v32, -v132
	v_fmac_f32_e32 v133, v63, v32
	v_add_f32_e32 v62, v54, v65
	v_add_f32_e32 v63, v125, v135
	v_sub_f32_e32 v54, v54, v65
	v_sub_f32_e32 v65, v125, v135
	v_add_f32_e32 v66, v55, v61
	v_add_f32_e32 v67, v127, v133
	v_sub_f32_e32 v55, v55, v61
	v_sub_f32_e32 v61, v127, v133
	;; [unrolled: 4-line block ×3, first 2 shown]
	s_waitcnt vmcnt(2)
	v_mul_f32_e32 v124, v51, v25
	v_mul_f32_e32 v125, v50, v25
	;; [unrolled: 1-line block ×4, first 2 shown]
	s_waitcnt vmcnt(1)
	v_mul_f32_e32 v131, v44, v23
	s_waitcnt vmcnt(0)
	v_mul_f32_e32 v132, v47, v29
	v_mul_f32_e32 v133, v46, v29
	;; [unrolled: 1-line block ×7, first 2 shown]
	v_add_f32_e32 v136, v66, v62
	v_add_f32_e32 v137, v67, v63
	v_sub_f32_e32 v139, v67, v63
	v_sub_f32_e32 v63, v63, v108
	;; [unrolled: 1-line block ×3, first 2 shown]
	v_add_f32_e32 v141, v64, v61
	v_sub_f32_e32 v142, v60, v55
	v_sub_f32_e32 v143, v64, v61
	;; [unrolled: 1-line block ×3, first 2 shown]
	v_fma_f32 v50, v50, v24, -v124
	v_fmac_f32_e32 v125, v51, v24
	v_fma_f32 v51, v56, v26, -v126
	v_fmac_f32_e32 v127, v57, v26
	v_fmac_f32_e32 v131, v45, v22
	v_fma_f32 v45, v46, v28, -v132
	v_fmac_f32_e32 v133, v47, v28
	v_fma_f32 v46, v105, v30, -v134
	v_fmac_f32_e32 v135, v106, v30
	v_sub_f32_e32 v138, v66, v62
	v_sub_f32_e32 v62, v62, v107
	;; [unrolled: 1-line block ×3, first 2 shown]
	v_add_f32_e32 v140, v60, v55
	v_sub_f32_e32 v64, v65, v64
	v_sub_f32_e32 v55, v55, v54
	v_fma_f32 v56, v58, v20, -v128
	v_fmac_f32_e32 v129, v59, v20
	v_fma_f32 v44, v44, v22, -v130
	v_add_f32_e32 v47, v107, v136
	v_add_f32_e32 v57, v108, v137
	;; [unrolled: 1-line block ×3, first 2 shown]
	v_mul_f32_e32 v65, 0x3f4a47b2, v63
	v_mul_f32_e32 v106, 0x3d64c772, v67
	;; [unrolled: 1-line block ×5, first 2 shown]
	v_add_f32_e32 v128, v50, v46
	v_add_f32_e32 v130, v125, v135
	v_sub_f32_e32 v46, v50, v46
	v_sub_f32_e32 v50, v125, v135
	v_add_f32_e32 v125, v51, v45
	v_add_f32_e32 v132, v127, v133
	v_sub_f32_e32 v60, v54, v60
	v_mul_f32_e32 v59, 0x3f4a47b2, v62
	v_mul_f32_e32 v105, 0x3d64c772, v66
	;; [unrolled: 1-line block ×3, first 2 shown]
	v_sub_f32_e32 v45, v51, v45
	v_sub_f32_e32 v51, v127, v133
	v_add_f32_e32 v127, v56, v44
	v_add_f32_e32 v133, v129, v131
	v_sub_f32_e32 v44, v44, v56
	v_sub_f32_e32 v56, v131, v129
	v_add_f32_e32 v63, v53, v57
	v_fmamk_f32 v53, v67, 0x3d64c772, v65
	v_fma_f32 v67, 0x3f3bfb3b, v139, -v106
	v_fmamk_f32 v106, v64, 0x3eae86e6, v108
	v_fma_f32 v129, 0x3f5ff5aa, v55, -v107
	v_fma_f32 v61, 0x3f5ff5aa, v61, -v108
	;; [unrolled: 1-line block ×3, first 2 shown]
	v_add_f32_e32 v55, v125, v128
	v_add_f32_e32 v64, v132, v130
	;; [unrolled: 1-line block ×4, first 2 shown]
	v_fmamk_f32 v52, v66, 0x3d64c772, v59
	v_fma_f32 v66, 0x3f3bfb3b, v138, -v105
	v_fmamk_f32 v105, v60, 0x3eae86e6, v107
	v_fma_f32 v60, 0xbeae86e6, v60, -v124
	v_sub_f32_e32 v107, v125, v128
	v_sub_f32_e32 v108, v132, v130
	;; [unrolled: 1-line block ×6, first 2 shown]
	v_add_f32_e32 v131, v44, v45
	v_add_f32_e32 v132, v56, v51
	v_sub_f32_e32 v134, v44, v45
	v_sub_f32_e32 v135, v56, v51
	;; [unrolled: 1-line block ×4, first 2 shown]
	v_fmamk_f32 v51, v57, 0xbf955555, v63
	v_fmac_f32_e32 v106, 0x3ee1c552, v58
	v_fmac_f32_e32 v61, 0x3ee1c552, v58
	;; [unrolled: 1-line block ×3, first 2 shown]
	v_add_f32_e32 v57, v127, v55
	v_add_f32_e32 v58, v133, v64
	v_fma_f32 v59, 0xbf3bfb3b, v138, -v59
	v_fma_f32 v65, 0xbf3bfb3b, v139, -v65
	v_sub_f32_e32 v44, v46, v44
	v_sub_f32_e32 v56, v50, v56
	v_fmamk_f32 v47, v47, 0xbf955555, v62
	v_fmac_f32_e32 v105, 0x3ee1c552, v54
	v_fmac_f32_e32 v129, 0x3ee1c552, v54
	;; [unrolled: 1-line block ×3, first 2 shown]
	v_add_f32_e32 v46, v131, v46
	v_add_f32_e32 v131, v132, v50
	v_mul_f32_e32 v50, 0x3f4a47b2, v124
	v_mul_f32_e32 v54, 0x3f4a47b2, v128
	;; [unrolled: 1-line block ×8, first 2 shown]
	v_add_f32_e32 v48, v48, v57
	v_add_f32_e32 v49, v49, v58
	;; [unrolled: 1-line block ×8, first 2 shown]
	v_fmamk_f32 v138, v125, 0x3d64c772, v50
	v_fmamk_f32 v130, v130, 0x3d64c772, v54
	v_fma_f32 v139, 0x3f3bfb3b, v107, -v55
	v_fma_f32 v140, 0x3f3bfb3b, v108, -v64
	;; [unrolled: 1-line block ×4, first 2 shown]
	v_fmamk_f32 v50, v44, 0x3eae86e6, v124
	v_fmamk_f32 v51, v56, 0x3eae86e6, v127
	v_fma_f32 v52, 0x3f5ff5aa, v45, -v124
	v_fma_f32 v53, 0x3f5ff5aa, v136, -v127
	;; [unrolled: 1-line block ×4, first 2 shown]
	v_fmamk_f32 v44, v57, 0xbf955555, v48
	v_fmamk_f32 v45, v58, 0xbf955555, v49
	v_sub_f32_e32 v67, v59, v60
	v_sub_f32_e32 v107, v135, v61
	v_add_f32_e32 v124, v61, v135
	v_add_f32_e32 v127, v60, v59
	v_fmac_f32_e32 v50, 0x3ee1c552, v46
	v_fmac_f32_e32 v51, 0x3ee1c552, v131
	v_fmac_f32_e32 v52, 0x3ee1c552, v46
	v_fmac_f32_e32 v53, 0x3ee1c552, v131
	v_fmac_f32_e32 v54, 0x3ee1c552, v46
	v_fmac_f32_e32 v55, 0x3ee1c552, v131
	v_add_f32_e32 v56, v138, v44
	v_add_f32_e32 v57, v139, v44
	;; [unrolled: 1-line block ×7, first 2 shown]
	v_sub_f32_e32 v65, v134, v105
	v_add_f32_e32 v66, v126, v47
	v_add_f32_e32 v108, v129, v137
	v_sub_f32_e32 v125, v137, v129
	v_sub_f32_e32 v126, v47, v126
	;; [unrolled: 1-line block ×3, first 2 shown]
	v_add_f32_e32 v129, v105, v134
	v_add_f32_e32 v44, v53, v57
	v_sub_f32_e32 v45, v60, v52
	v_sub_f32_e32 v46, v58, v55
	v_add_f32_e32 v47, v54, v61
	v_sub_f32_e32 v105, v56, v51
	v_add_f32_e32 v106, v50, v59
	ds_write2_b64 v109, v[62:63], v[64:65] offset1:242
	ds_write2_b64 v122, v[66:67], v[107:108] offset0:4 offset1:246
	ds_write2_b64 v123, v[124:125], v[126:127] offset0:8 offset1:250
	ds_write_b64 v109, v[128:129] offset:11616
	s_and_saveexec_b32 s1, s0
	s_cbranch_execz .LBB0_9
; %bb.8:
	v_add_f32_e32 v63, v52, v60
	v_sub_f32_e32 v62, v57, v53
	v_sub_f32_e32 v53, v61, v54
	v_add_f32_e32 v52, v55, v58
	v_sub_f32_e32 v55, v59, v50
	v_add_f32_e32 v54, v51, v56
	v_add_nc_u32_e32 v50, 0x480, v109
	v_add_nc_u32_e32 v51, 0x13c0, v109
	;; [unrolled: 1-line block ×3, first 2 shown]
	ds_write2_b64 v50, v[48:49], v[54:55] offset0:10 offset1:252
	ds_write2_b64 v51, v[52:53], v[62:63] offset0:6 offset1:248
	;; [unrolled: 1-line block ×3, first 2 shown]
	ds_write_b64 v109, v[105:106] offset:12848
.LBB0_9:
	s_or_b32 exec_lo, exec_lo, s1
	v_add_co_u32 v48, s1, 0x34f0, v112
	v_add_co_ci_u32_e64 v49, s1, 0, v111, s1
	s_waitcnt lgkmcnt(0)
	s_barrier
	buffer_gl0_inv
	s_clause 0x1
	global_load_dwordx2 v[52:53], v[91:92], off offset:1264
	global_load_dwordx2 v[54:55], v[48:49], off offset:1232
	v_add_co_u32 v48, s1, 0x3800, v112
	v_add_co_u32 v50, s2, 0x4000, v112
	;; [unrolled: 1-line block ×3, first 2 shown]
	v_add_co_ci_u32_e64 v49, s1, 0, v111, s1
	v_add_co_u32 v58, s4, 0x5000, v112
	v_add_co_ci_u32_e64 v51, s1, 0, v111, s2
	v_add_co_ci_u32_e64 v57, s1, 0, v111, s3
	v_add_co_u32 v60, s5, 0x5800, v112
	v_add_co_ci_u32_e64 v59, s1, 0, v111, s4
	v_add_co_u32 v62, s6, 0x6000, v112
	global_load_dwordx2 v[65:66], v[48:49], off offset:1680
	v_add_co_ci_u32_e64 v61, s1, 0, v111, s5
	s_clause 0x1
	global_load_dwordx2 v[91:92], v[50:51], off offset:864
	global_load_dwordx2 v[107:108], v[56:57], off offset:48
	v_add_co_ci_u32_e64 v63, s1, 0, v111, s6
	s_clause 0x5
	global_load_dwordx2 v[122:123], v[56:57], off offset:1280
	global_load_dwordx2 v[124:125], v[58:59], off offset:464
	;; [unrolled: 1-line block ×6, first 2 shown]
	ds_read2_b64 v[48:51], v109 offset1:154
	v_add_nc_u32_e32 v60, 0x800, v109
	v_add_nc_u32_e32 v136, 0x1200, v109
	;; [unrolled: 1-line block ×4, first 2 shown]
	s_waitcnt vmcnt(10) lgkmcnt(0)
	v_mul_f32_e32 v57, v49, v53
	v_mul_f32_e32 v56, v48, v53
	s_waitcnt vmcnt(9)
	v_mul_f32_e32 v58, v51, v55
	v_mul_f32_e32 v53, v50, v55
	v_fma_f32 v55, v48, v52, -v57
	v_fmac_f32_e32 v56, v49, v52
	v_fma_f32 v52, v50, v54, -v58
	v_fmac_f32_e32 v53, v51, v54
	ds_write2_b64 v109, v[55:56], v[52:53] offset1:154
	ds_read2_b64 v[48:51], v60 offset0:52 offset1:206
	ds_read2_b64 v[52:55], v136 offset0:40 offset1:194
	;; [unrolled: 1-line block ×4, first 2 shown]
	ds_read_b64 v[132:133], v109 offset:12320
	s_waitcnt vmcnt(4) lgkmcnt(2)
	v_mul_f32_e32 v142, v57, v125
	v_mul_f32_e32 v134, v49, v66
	;; [unrolled: 1-line block ×10, first 2 shown]
	s_waitcnt vmcnt(3)
	v_mul_f32_e32 v143, v59, v112
	v_mul_f32_e32 v125, v58, v112
	s_waitcnt vmcnt(2) lgkmcnt(1)
	v_mul_f32_e32 v144, v62, v127
	v_mul_f32_e32 v112, v61, v127
	s_waitcnt vmcnt(1)
	v_mul_f32_e32 v145, v64, v129
	v_mul_f32_e32 v127, v63, v129
	s_waitcnt vmcnt(0) lgkmcnt(0)
	v_mul_f32_e32 v146, v133, v131
	v_mul_f32_e32 v129, v132, v131
	v_fma_f32 v66, v48, v65, -v134
	v_fmac_f32_e32 v67, v49, v65
	v_fma_f32 v134, v50, v91, -v139
	v_fmac_f32_e32 v135, v51, v91
	;; [unrolled: 2-line block ×9, first 2 shown]
	ds_write2_b64 v60, v[66:67], v[134:135] offset0:52 offset1:206
	ds_write2_b64 v136, v[91:92], v[107:108] offset0:40 offset1:194
	;; [unrolled: 1-line block ×4, first 2 shown]
	ds_write_b64 v109, v[128:129] offset:12320
	s_waitcnt lgkmcnt(0)
	s_barrier
	buffer_gl0_inv
	ds_read2_b64 v[52:55], v109 offset1:154
	ds_read_b64 v[56:57], v109 offset:12320
	ds_read2_b64 v[61:64], v60 offset0:52 offset1:206
	ds_read2_b64 v[48:51], v138 offset0:80 offset1:234
	ds_read2_b64 v[122:125], v136 offset0:40 offset1:194
	ds_read2_b64 v[126:129], v137 offset0:28 offset1:182
	v_add_nc_u32_e32 v67, 0x1300, v109
	v_add_nc_u32_e32 v111, 0x1e00, v109
	;; [unrolled: 1-line block ×3, first 2 shown]
	s_waitcnt lgkmcnt(0)
	s_barrier
	buffer_gl0_inv
	v_add_f32_e32 v58, v52, v54
	v_add_f32_e32 v59, v53, v55
	v_add_f32_e32 v66, v57, v55
	v_sub_f32_e32 v55, v55, v57
	v_add_f32_e32 v65, v56, v54
	v_add_f32_e32 v58, v58, v61
	v_add_f32_e32 v59, v59, v62
	v_sub_f32_e32 v54, v54, v56
	v_add_f32_e32 v91, v50, v61
	v_add_f32_e32 v92, v51, v62
	v_sub_f32_e32 v107, v61, v50
	v_sub_f32_e32 v108, v62, v51
	v_add_f32_e32 v131, v49, v64
	v_sub_f32_e32 v133, v64, v49
	v_add_f32_e32 v135, v129, v123
	;; [unrolled: 2-line block ×3, first 2 shown]
	v_sub_f32_e32 v141, v125, v127
	v_mul_f32_e32 v61, 0xbf0a6770, v55
	v_mul_f32_e32 v62, 0x3f575c64, v66
	;; [unrolled: 1-line block ×9, first 2 shown]
	v_add_f32_e32 v58, v58, v63
	v_add_f32_e32 v59, v59, v64
	v_mul_f32_e32 v66, 0xbf75a155, v66
	v_add_f32_e32 v130, v48, v63
	v_sub_f32_e32 v132, v63, v48
	v_add_f32_e32 v134, v128, v122
	v_sub_f32_e32 v136, v122, v128
	;; [unrolled: 2-line block ×3, first 2 shown]
	v_mul_f32_e32 v148, 0xbf68dda4, v108
	v_mul_f32_e32 v149, 0x3ed4b147, v92
	;; [unrolled: 1-line block ×40, first 2 shown]
	v_fmamk_f32 v63, v65, 0x3f575c64, v61
	v_fmamk_f32 v64, v54, 0x3f0a6770, v62
	v_fma_f32 v61, 0x3f575c64, v65, -v61
	v_fmamk_f32 v180, v65, 0x3ed4b147, v142
	v_fmamk_f32 v181, v54, 0x3f68dda4, v143
	v_fma_f32 v142, 0x3ed4b147, v65, -v142
	v_fmac_f32_e32 v143, 0xbf68dda4, v54
	v_fmamk_f32 v182, v65, 0xbe11bafb, v144
	v_fmamk_f32 v183, v54, 0x3f7d64f0, v145
	v_fma_f32 v144, 0xbe11bafb, v65, -v144
	v_fmamk_f32 v184, v65, 0xbf27a4f4, v146
	v_fmamk_f32 v185, v54, 0x3f4178ce, v147
	v_fma_f32 v146, 0xbf27a4f4, v65, -v146
	v_fmamk_f32 v186, v65, 0xbf75a155, v55
	v_fma_f32 v55, 0xbf75a155, v65, -v55
	v_add_f32_e32 v58, v58, v122
	v_add_f32_e32 v59, v59, v123
	v_fmac_f32_e32 v62, 0xbf0a6770, v54
	v_fmac_f32_e32 v145, 0xbf7d64f0, v54
	v_fmamk_f32 v187, v54, 0x3e903f40, v66
	v_fmac_f32_e32 v147, 0xbf4178ce, v54
	v_fmac_f32_e32 v66, 0xbe903f40, v54
	v_fmamk_f32 v54, v91, 0x3ed4b147, v148
	v_fmamk_f32 v65, v107, 0x3f68dda4, v149
	v_fma_f32 v148, 0x3ed4b147, v91, -v148
	v_fmac_f32_e32 v149, 0xbf68dda4, v107
	v_fmamk_f32 v188, v91, 0xbf27a4f4, v150
	v_fmamk_f32 v189, v107, 0x3f4178ce, v151
	v_fma_f32 v150, 0xbf27a4f4, v91, -v150
	;; [unrolled: 4-line block ×20, first 2 shown]
	v_fmac_f32_e32 v139, 0xbf7d64f0, v140
	v_add_f32_e32 v63, v52, v63
	v_add_f32_e32 v64, v53, v64
	;; [unrolled: 1-line block ×110, first 2 shown]
	ds_write2_b64 v113, v[52:53], v[58:59] offset0:2 offset1:3
	v_add_f32_e32 v52, v122, v56
	v_add_f32_e32 v53, v123, v57
	ds_write2_b64 v113, v[63:64], v[107:108] offset0:4 offset1:5
	ds_write2_b64 v113, v[50:51], v[65:66] offset0:6 offset1:7
	;; [unrolled: 1-line block ×3, first 2 shown]
	ds_write_b64 v113, v[91:92] offset:80
	ds_write2_b64 v113, v[52:53], v[48:49] offset1:1
	s_waitcnt lgkmcnt(0)
	s_barrier
	buffer_gl0_inv
	ds_read2_b64 v[56:59], v109 offset1:154
	ds_read2_b64 v[48:51], v67 offset0:8 offset1:239
	ds_read2_b64 v[64:67], v111 offset0:41 offset1:195
	;; [unrolled: 1-line block ×4, first 2 shown]
	s_and_saveexec_b32 s1, vcc_lo
	s_cbranch_execz .LBB0_11
; %bb.10:
	ds_read_b64 v[91:92], v109 offset:6160
	ds_read_b64 v[44:45], v109 offset:12936
.LBB0_11:
	s_or_b32 exec_lo, exec_lo, s1
	s_waitcnt lgkmcnt(3)
	v_mul_f32_e32 v107, v104, v51
	v_mul_f32_e32 v104, v104, v50
	s_waitcnt lgkmcnt(2)
	v_mul_f32_e32 v108, v102, v65
	v_mul_f32_e32 v102, v102, v64
	s_waitcnt lgkmcnt(0)
	v_fmac_f32_e32 v107, v103, v50
	v_fma_f32 v51, v103, v51, -v104
	v_mul_f32_e32 v103, v100, v67
	v_mul_f32_e32 v50, v100, v66
	v_fmac_f32_e32 v108, v101, v64
	v_mul_f32_e32 v64, v98, v61
	v_fma_f32 v65, v101, v65, -v102
	v_fmac_f32_e32 v103, v99, v66
	v_fma_f32 v66, v99, v67, -v50
	v_mul_f32_e32 v50, v98, v60
	v_fmac_f32_e32 v64, v97, v60
	v_mul_f32_e32 v67, v96, v63
	v_mul_f32_e32 v60, v96, v62
	;; [unrolled: 1-line block ×3, first 2 shown]
	v_fma_f32 v97, v97, v61, -v50
	v_mul_f32_e32 v61, v94, v44
	v_fmac_f32_e32 v67, v95, v62
	v_fma_f32 v94, v95, v63, -v60
	v_fmac_f32_e32 v96, v93, v44
	v_sub_f32_e32 v50, v56, v107
	v_fma_f32 v45, v93, v45, -v61
	v_sub_f32_e32 v51, v57, v51
	v_sub_f32_e32 v60, v58, v108
	;; [unrolled: 1-line block ×9, first 2 shown]
	v_fma_f32 v56, v56, 2.0, -v50
	v_fma_f32 v57, v57, 2.0, -v51
	v_sub_f32_e32 v44, v91, v96
	v_sub_f32_e32 v45, v92, v45
	v_fma_f32 v58, v58, 2.0, -v60
	v_fma_f32 v59, v59, 2.0, -v61
	;; [unrolled: 1-line block ×8, first 2 shown]
	s_barrier
	buffer_gl0_inv
	ds_write2_b64 v120, v[56:57], v[50:51] offset1:11
	ds_write2_b64 v119, v[58:59], v[60:61] offset1:11
	;; [unrolled: 1-line block ×5, first 2 shown]
	s_and_saveexec_b32 s1, vcc_lo
	s_cbranch_execz .LBB0_13
; %bb.12:
	v_mad_u16 v50, v114, 22, v115
	v_mov_b32_e32 v51, 3
	v_fma_f32 v49, v92, 2.0, -v45
	v_fma_f32 v48, v91, 2.0, -v44
	v_lshlrev_b32_sdwa v50, v51, v50 dst_sel:DWORD dst_unused:UNUSED_PAD src0_sel:DWORD src1_sel:WORD_0
	ds_write2_b64 v50, v[48:49], v[44:45] offset1:11
.LBB0_13:
	s_or_b32 exec_lo, exec_lo, s1
	s_waitcnt lgkmcnt(0)
	s_barrier
	buffer_gl0_inv
	ds_read2_b64 v[48:51], v109 offset1:154
	v_add_nc_u32_e32 v52, 0x800, v109
	v_add_nc_u32_e32 v56, 0x1200, v109
	ds_read2_b64 v[52:55], v52 offset0:52 offset1:206
	ds_read2_b64 v[56:59], v56 offset0:40 offset1:194
	v_add_nc_u32_e32 v60, 0x1c00, v109
	v_add_nc_u32_e32 v64, 0x2400, v109
	ds_read2_b64 v[60:63], v60 offset0:28 offset1:182
	ds_read_b64 v[91:92], v109 offset:12320
	ds_read2_b64 v[64:67], v64 offset0:80 offset1:234
	s_waitcnt lgkmcnt(0)
	s_barrier
	buffer_gl0_inv
	v_mul_f32_e32 v93, v17, v51
	v_mul_f32_e32 v17, v17, v50
	v_fmac_f32_e32 v93, v16, v50
	v_fma_f32 v16, v16, v51, -v17
	v_mul_f32_e32 v17, v19, v53
	v_mul_f32_e32 v19, v19, v52
	;; [unrolled: 1-line block ×8, first 2 shown]
	v_fmac_f32_e32 v17, v18, v52
	v_fma_f32 v18, v18, v53, -v19
	v_fmac_f32_e32 v50, v12, v54
	v_fma_f32 v12, v12, v55, -v13
	v_fma_f32 v13, v14, v57, -v15
	v_add_f32_e32 v15, v48, v93
	v_add_f32_e32 v19, v49, v16
	v_fmac_f32_e32 v51, v14, v56
	v_mul_f32_e32 v14, v7, v61
	v_fmac_f32_e32 v94, v4, v58
	v_fma_f32 v4, v4, v59, -v5
	v_mul_f32_e32 v5, v7, v60
	v_add_f32_e32 v7, v15, v17
	v_add_f32_e32 v15, v19, v18
	v_fmac_f32_e32 v14, v6, v60
	v_mul_f32_e32 v19, v1, v63
	v_mul_f32_e32 v1, v1, v62
	v_fma_f32 v5, v6, v61, -v5
	v_add_f32_e32 v6, v7, v50
	v_add_f32_e32 v7, v15, v12
	v_fmac_f32_e32 v19, v0, v62
	v_fma_f32 v0, v0, v63, -v1
	v_mul_f32_e32 v1, v3, v65
	v_mul_f32_e32 v3, v3, v64
	v_add_f32_e32 v7, v7, v13
	v_add_f32_e32 v6, v6, v51
	v_mul_f32_e32 v15, v9, v67
	v_fmac_f32_e32 v1, v2, v64
	v_fma_f32 v2, v2, v65, -v3
	v_add_f32_e32 v7, v7, v4
	v_mul_f32_e32 v3, v11, v91
	v_add_f32_e32 v6, v6, v94
	v_mul_f32_e32 v11, v11, v92
	v_mul_f32_e32 v9, v9, v66
	v_add_f32_e32 v7, v7, v5
	v_fma_f32 v3, v10, v92, -v3
	v_add_f32_e32 v6, v6, v14
	v_fmac_f32_e32 v11, v10, v91
	v_fma_f32 v10, v8, v67, -v9
	v_add_f32_e32 v7, v7, v0
	v_sub_f32_e32 v52, v16, v3
	v_add_f32_e32 v6, v6, v19
	v_add_f32_e32 v53, v93, v11
	v_fmac_f32_e32 v15, v8, v66
	v_add_f32_e32 v7, v7, v2
	v_mul_f32_e32 v54, 0xbf0a6770, v52
	v_add_f32_e32 v6, v6, v1
	v_add_f32_e32 v16, v16, v3
	v_sub_f32_e32 v55, v93, v11
	v_add_f32_e32 v7, v7, v10
	v_fmamk_f32 v57, v53, 0x3f575c64, v54
	v_add_f32_e32 v6, v6, v15
	v_mul_f32_e32 v56, 0x3f575c64, v16
	v_mul_f32_e32 v58, 0xbf7d64f0, v52
	v_add_f32_e32 v9, v7, v3
	v_mul_f32_e32 v3, 0xbf68dda4, v52
	v_add_f32_e32 v7, v48, v57
	v_mul_f32_e32 v57, 0x3ed4b147, v16
	v_mul_f32_e32 v60, 0xbe11bafb, v16
	;; [unrolled: 1-line block ×6, first 2 shown]
	v_sub_f32_e32 v91, v18, v10
	v_add_f32_e32 v10, v18, v10
	v_add_f32_e32 v8, v6, v11
	v_fmamk_f32 v6, v55, 0x3f0a6770, v56
	v_fma_f32 v11, 0x3f575c64, v53, -v54
	v_fmac_f32_e32 v56, 0xbf0a6770, v55
	v_fmamk_f32 v54, v53, 0x3ed4b147, v3
	v_fmamk_f32 v59, v55, 0x3f68dda4, v57
	v_fma_f32 v3, 0x3ed4b147, v53, -v3
	v_fmac_f32_e32 v57, 0xbf68dda4, v55
	v_fmamk_f32 v61, v53, 0xbe11bafb, v58
	;; [unrolled: 4-line block ×4, first 2 shown]
	v_fmamk_f32 v92, v55, 0x3e903f40, v16
	v_fma_f32 v52, 0xbf75a155, v53, -v52
	v_add_f32_e32 v18, v17, v15
	v_mul_f32_e32 v53, 0xbf68dda4, v91
	v_fmac_f32_e32 v16, 0xbe903f40, v55
	v_sub_f32_e32 v15, v17, v15
	v_mul_f32_e32 v17, 0x3ed4b147, v10
	v_add_f32_e32 v6, v49, v6
	v_add_f32_e32 v11, v48, v11
	v_add_f32_e32 v56, v49, v56
	v_add_f32_e32 v54, v48, v54
	v_add_f32_e32 v59, v49, v59
	v_add_f32_e32 v3, v48, v3
	v_add_f32_e32 v57, v49, v57
	v_add_f32_e32 v61, v48, v61
	v_add_f32_e32 v62, v49, v62
	v_add_f32_e32 v58, v48, v58
	v_add_f32_e32 v60, v49, v60
	v_add_f32_e32 v65, v48, v65
	v_add_f32_e32 v66, v49, v66
	v_add_f32_e32 v63, v48, v63
	v_add_f32_e32 v64, v49, v64
	v_add_f32_e32 v67, v48, v67
	v_add_f32_e32 v55, v49, v92
	v_fmamk_f32 v92, v18, 0x3ed4b147, v53
	v_add_f32_e32 v48, v48, v52
	v_add_f32_e32 v16, v49, v16
	v_fmamk_f32 v49, v15, 0x3f68dda4, v17
	v_mul_f32_e32 v52, 0xbf4178ce, v91
	v_add_f32_e32 v7, v92, v7
	v_fma_f32 v53, 0x3ed4b147, v18, -v53
	v_mul_f32_e32 v92, 0xbf27a4f4, v10
	v_add_f32_e32 v6, v49, v6
	v_fmamk_f32 v49, v18, 0xbf27a4f4, v52
	v_fmac_f32_e32 v17, 0xbf68dda4, v15
	v_add_f32_e32 v11, v53, v11
	v_mul_f32_e32 v53, 0x3e903f40, v91
	v_fma_f32 v52, 0xbf27a4f4, v18, -v52
	v_add_f32_e32 v49, v49, v54
	v_fmamk_f32 v54, v15, 0x3f4178ce, v92
	v_fmac_f32_e32 v92, 0xbf4178ce, v15
	v_mul_f32_e32 v93, 0xbf75a155, v10
	v_add_f32_e32 v17, v17, v56
	v_fmamk_f32 v56, v18, 0xbf75a155, v53
	v_add_f32_e32 v54, v54, v59
	v_add_f32_e32 v3, v52, v3
	v_add_f32_e32 v52, v92, v57
	v_fmamk_f32 v57, v15, 0xbe903f40, v93
	v_mul_f32_e32 v59, 0x3f7d64f0, v91
	v_add_f32_e32 v56, v56, v61
	v_fma_f32 v53, 0xbf75a155, v18, -v53
	v_mul_f32_e32 v61, 0xbe11bafb, v10
	v_add_f32_e32 v57, v57, v62
	v_fmamk_f32 v62, v18, 0xbe11bafb, v59
	v_mul_f32_e32 v91, 0x3f0a6770, v91
	v_fma_f32 v59, 0xbe11bafb, v18, -v59
	v_add_f32_e32 v53, v53, v58
	v_fmamk_f32 v58, v15, 0xbf7d64f0, v61
	v_add_f32_e32 v62, v62, v65
	v_fmac_f32_e32 v61, 0x3f7d64f0, v15
	v_fmamk_f32 v65, v18, 0x3f575c64, v91
	v_add_f32_e32 v59, v59, v63
	v_sub_f32_e32 v63, v12, v2
	v_add_f32_e32 v58, v58, v66
	v_mul_f32_e32 v10, 0x3f575c64, v10
	v_add_f32_e32 v61, v61, v64
	v_add_f32_e32 v64, v65, v67
	;; [unrolled: 1-line block ×3, first 2 shown]
	v_mul_f32_e32 v67, 0xbf7d64f0, v63
	v_add_f32_e32 v2, v12, v2
	v_fmac_f32_e32 v93, 0x3e903f40, v15
	v_fmamk_f32 v65, v15, 0xbf0a6770, v10
	v_fma_f32 v12, 0x3f575c64, v18, -v91
	v_fmac_f32_e32 v10, 0x3f0a6770, v15
	v_sub_f32_e32 v1, v50, v1
	v_fmamk_f32 v15, v66, 0xbe11bafb, v67
	v_mul_f32_e32 v18, 0xbe11bafb, v2
	v_add_f32_e32 v50, v65, v55
	v_add_f32_e32 v12, v12, v48
	;; [unrolled: 1-line block ×4, first 2 shown]
	v_fmamk_f32 v15, v1, 0x3f7d64f0, v18
	v_mul_f32_e32 v16, 0x3e903f40, v63
	v_fma_f32 v48, 0xbe11bafb, v66, -v67
	v_fmac_f32_e32 v18, 0xbf7d64f0, v1
	v_mul_f32_e32 v55, 0xbf75a155, v2
	v_add_f32_e32 v6, v15, v6
	v_fmamk_f32 v15, v66, 0xbf75a155, v16
	v_add_f32_e32 v11, v48, v11
	v_add_f32_e32 v17, v18, v17
	v_fmamk_f32 v18, v1, 0xbe903f40, v55
	v_mul_f32_e32 v48, 0x3f68dda4, v63
	v_fma_f32 v16, 0xbf75a155, v66, -v16
	v_fmac_f32_e32 v55, 0x3e903f40, v1
	v_add_f32_e32 v15, v15, v49
	v_add_f32_e32 v18, v18, v54
	v_fmamk_f32 v49, v66, 0x3ed4b147, v48
	v_mul_f32_e32 v54, 0x3ed4b147, v2
	v_add_f32_e32 v3, v16, v3
	v_add_f32_e32 v16, v55, v52
	v_mul_f32_e32 v52, 0xbf0a6770, v63
	v_add_f32_e32 v60, v93, v60
	v_add_f32_e32 v49, v49, v56
	v_fmamk_f32 v55, v1, 0xbf68dda4, v54
	v_fma_f32 v48, 0x3ed4b147, v66, -v48
	v_fmac_f32_e32 v54, 0x3f68dda4, v1
	v_fmamk_f32 v56, v66, 0x3f575c64, v52
	v_mul_f32_e32 v65, 0x3f575c64, v2
	v_mul_f32_e32 v2, 0xbf27a4f4, v2
	v_add_f32_e32 v48, v48, v53
	v_add_f32_e32 v53, v54, v60
	;; [unrolled: 1-line block ×3, first 2 shown]
	v_fmamk_f32 v56, v1, 0x3f0a6770, v65
	v_fma_f32 v52, 0x3f575c64, v66, -v52
	v_fmac_f32_e32 v65, 0xbf0a6770, v1
	v_add_f32_e32 v55, v55, v57
	v_mul_f32_e32 v57, 0xbf4178ce, v63
	v_fmamk_f32 v60, v1, 0x3f4178ce, v2
	v_add_f32_e32 v52, v52, v59
	v_add_f32_e32 v59, v65, v61
	v_sub_f32_e32 v61, v13, v0
	v_add_f32_e32 v0, v13, v0
	v_add_f32_e32 v56, v56, v58
	v_fmamk_f32 v58, v66, 0xbf27a4f4, v57
	v_add_f32_e32 v50, v60, v50
	v_add_f32_e32 v60, v51, v19
	v_mul_f32_e32 v13, 0xbf4178ce, v61
	v_fma_f32 v57, 0xbf27a4f4, v66, -v57
	v_fmac_f32_e32 v2, 0xbf4178ce, v1
	v_sub_f32_e32 v1, v51, v19
	v_mul_f32_e32 v19, 0xbf27a4f4, v0
	v_fmamk_f32 v51, v60, 0xbf27a4f4, v13
	v_add_f32_e32 v12, v57, v12
	v_add_f32_e32 v2, v2, v10
	v_mul_f32_e32 v10, 0x3f7d64f0, v61
	v_fmamk_f32 v57, v1, 0x3f4178ce, v19
	v_fma_f32 v13, 0xbf27a4f4, v60, -v13
	v_add_f32_e32 v7, v51, v7
	v_fmac_f32_e32 v19, 0xbf4178ce, v1
	v_fmamk_f32 v51, v60, 0xbe11bafb, v10
	v_add_f32_e32 v6, v57, v6
	v_mul_f32_e32 v57, 0xbe11bafb, v0
	v_add_f32_e32 v13, v13, v11
	v_mul_f32_e32 v11, 0xbf0a6770, v61
	v_add_f32_e32 v17, v19, v17
	v_add_f32_e32 v15, v51, v15
	v_fmamk_f32 v19, v1, 0xbf7d64f0, v57
	v_fma_f32 v10, 0xbe11bafb, v60, -v10
	v_mul_f32_e32 v51, 0x3f575c64, v0
	v_fmamk_f32 v62, v60, 0x3f575c64, v11
	v_fmac_f32_e32 v57, 0x3f7d64f0, v1
	v_add_f32_e32 v18, v19, v18
	v_add_f32_e32 v3, v10, v3
	v_fmamk_f32 v10, v1, 0x3f0a6770, v51
	v_add_f32_e32 v19, v62, v49
	v_mul_f32_e32 v49, 0xbe903f40, v61
	v_fma_f32 v11, 0x3f575c64, v60, -v11
	v_add_f32_e32 v16, v57, v16
	v_fmac_f32_e32 v51, 0xbf0a6770, v1
	v_add_f32_e32 v55, v10, v55
	v_mul_f32_e32 v10, 0xbf75a155, v0
	v_fmamk_f32 v57, v60, 0xbf75a155, v49
	v_add_f32_e32 v48, v11, v48
	v_mul_f32_e32 v11, 0x3f68dda4, v61
	v_add_f32_e32 v58, v58, v64
	v_add_f32_e32 v51, v51, v53
	v_fmamk_f32 v53, v1, 0x3e903f40, v10
	v_add_f32_e32 v54, v57, v54
	v_fmamk_f32 v57, v60, 0x3ed4b147, v11
	v_fma_f32 v49, 0xbf75a155, v60, -v49
	v_fmac_f32_e32 v10, 0xbe903f40, v1
	v_add_f32_e32 v53, v53, v56
	v_mul_f32_e32 v0, 0x3ed4b147, v0
	v_add_f32_e32 v56, v57, v58
	v_add_f32_e32 v58, v4, v5
	;; [unrolled: 1-line block ×4, first 2 shown]
	v_sub_f32_e32 v57, v4, v5
	v_fmamk_f32 v10, v1, 0xbf68dda4, v0
	v_fmac_f32_e32 v0, 0x3f68dda4, v1
	v_sub_f32_e32 v1, v94, v14
	v_mul_f32_e32 v5, 0xbf75a155, v58
	v_fma_f32 v11, 0x3ed4b147, v60, -v11
	v_add_f32_e32 v59, v94, v14
	v_mul_f32_e32 v4, 0xbe903f40, v57
	v_add_f32_e32 v61, v0, v2
	v_fmamk_f32 v0, v1, 0x3e903f40, v5
	v_mul_f32_e32 v2, 0x3f0a6770, v57
	v_add_f32_e32 v50, v10, v50
	v_fmamk_f32 v10, v59, 0xbf75a155, v4
	v_add_f32_e32 v60, v11, v12
	v_fmac_f32_e32 v5, 0xbe903f40, v1
	v_add_f32_e32 v11, v0, v6
	v_fmamk_f32 v0, v59, 0x3f575c64, v2
	v_mul_f32_e32 v14, 0x3f575c64, v58
	v_add_f32_e32 v10, v10, v7
	v_fma_f32 v4, 0xbf75a155, v59, -v4
	v_add_f32_e32 v7, v5, v17
	v_mul_f32_e32 v17, 0xbf4178ce, v57
	v_add_f32_e32 v12, v0, v15
	v_fmamk_f32 v0, v1, 0xbf0a6770, v14
	v_fma_f32 v2, 0x3f575c64, v59, -v2
	v_fmac_f32_e32 v14, 0x3f0a6770, v1
	v_mul_f32_e32 v62, 0xbf27a4f4, v58
	v_add_f32_e32 v6, v4, v13
	v_fmamk_f32 v15, v59, 0xbf27a4f4, v17
	v_add_f32_e32 v13, v0, v18
	v_add_f32_e32 v4, v2, v3
	;; [unrolled: 1-line block ×3, first 2 shown]
	v_fmamk_f32 v0, v1, 0x3f4178ce, v62
	v_mul_f32_e32 v16, 0x3f68dda4, v57
	v_fma_f32 v2, 0xbf27a4f4, v59, -v17
	v_fmac_f32_e32 v62, 0xbf4178ce, v1
	v_add_f32_e32 v14, v15, v19
	v_mul_f32_e32 v18, 0x3ed4b147, v58
	v_add_f32_e32 v15, v0, v55
	v_fmamk_f32 v0, v59, 0x3ed4b147, v16
	v_add_f32_e32 v2, v2, v48
	v_add_f32_e32 v3, v62, v51
	v_fma_f32 v19, 0x3ed4b147, v59, -v16
	v_mul_f32_e32 v48, 0xbf7d64f0, v57
	v_mul_f32_e32 v51, 0xbe11bafb, v58
	v_fmamk_f32 v17, v1, 0xbf68dda4, v18
	v_add_f32_e32 v16, v0, v54
	v_add_f32_e32 v0, v19, v49
	v_fmac_f32_e32 v18, 0x3f68dda4, v1
	v_fmamk_f32 v19, v59, 0xbe11bafb, v48
	v_fmamk_f32 v49, v1, 0x3f7d64f0, v51
	v_fmac_f32_e32 v51, 0xbf7d64f0, v1
	v_fma_f32 v48, 0xbe11bafb, v59, -v48
	v_add_f32_e32 v1, v18, v52
	v_add_f32_e32 v18, v19, v56
	;; [unrolled: 1-line block ×4, first 2 shown]
	v_add_nc_u32_e32 v51, 0xf00, v109
	v_add_f32_e32 v17, v17, v53
	v_add_nc_u32_e32 v50, 0x1e00, v109
	v_add_f32_e32 v48, v48, v60
	ds_write2_b64 v121, v[8:9], v[10:11] offset1:22
	ds_write2_b64 v121, v[12:13], v[14:15] offset0:44 offset1:66
	ds_write2_b64 v121, v[16:17], v[18:19] offset0:88 offset1:110
	;; [unrolled: 1-line block ×4, first 2 shown]
	ds_write_b64 v121, v[6:7] offset:1760
	s_waitcnt lgkmcnt(0)
	s_barrier
	buffer_gl0_inv
	ds_read2_b64 v[8:11], v109 offset1:242
	ds_read2_b64 v[16:19], v51 offset0:4 offset1:246
	ds_read2_b64 v[12:15], v50 offset0:8 offset1:250
	ds_read_b64 v[48:49], v109 offset:11616
	s_and_saveexec_b32 s1, s0
	s_cbranch_execz .LBB0_15
; %bb.14:
	v_add_nc_u32_e32 v0, 0x480, v109
	v_add_nc_u32_e32 v4, 0x13c0, v109
	;; [unrolled: 1-line block ×3, first 2 shown]
	ds_read2_b64 v[0:3], v0 offset0:10 offset1:252
	ds_read2_b64 v[4:7], v4 offset0:6 offset1:248
	;; [unrolled: 1-line block ×3, first 2 shown]
	ds_read_b64 v[105:106], v109 offset:12848
.LBB0_15:
	s_or_b32 exec_lo, exec_lo, s1
	s_waitcnt lgkmcnt(3)
	v_mul_f32_e32 v52, v41, v11
	v_mul_f32_e32 v41, v41, v10
	s_waitcnt lgkmcnt(2)
	v_mul_f32_e32 v53, v43, v17
	v_mul_f32_e32 v43, v43, v16
	v_fmac_f32_e32 v52, v40, v10
	v_fma_f32 v10, v40, v11, -v41
	v_mul_f32_e32 v11, v37, v19
	v_mul_f32_e32 v37, v37, v18
	s_waitcnt lgkmcnt(1)
	v_mul_f32_e32 v40, v39, v13
	v_fmac_f32_e32 v53, v42, v16
	v_fma_f32 v16, v42, v17, -v43
	v_fmac_f32_e32 v11, v36, v18
	v_fma_f32 v17, v36, v19, -v37
	v_fmac_f32_e32 v40, v38, v12
	s_waitcnt lgkmcnt(0)
	v_mul_f32_e32 v18, v35, v49
	v_mul_f32_e32 v19, v35, v48
	;; [unrolled: 1-line block ×5, first 2 shown]
	v_fmac_f32_e32 v18, v34, v48
	v_fma_f32 v19, v34, v49, -v19
	v_fma_f32 v12, v38, v13, -v12
	v_fmac_f32_e32 v35, v32, v14
	v_fma_f32 v13, v32, v15, -v33
	v_add_f32_e32 v14, v52, v18
	v_add_f32_e32 v15, v10, v19
	v_sub_f32_e32 v10, v10, v19
	v_add_f32_e32 v19, v53, v35
	v_add_f32_e32 v32, v16, v13
	v_sub_f32_e32 v33, v53, v35
	v_sub_f32_e32 v13, v16, v13
	v_add_f32_e32 v16, v11, v40
	v_add_f32_e32 v34, v17, v12
	v_sub_f32_e32 v11, v40, v11
	;; [unrolled: 4-line block ×3, first 2 shown]
	v_sub_f32_e32 v36, v19, v14
	v_sub_f32_e32 v37, v32, v15
	;; [unrolled: 1-line block ×6, first 2 shown]
	v_add_f32_e32 v38, v11, v33
	v_add_f32_e32 v39, v12, v13
	v_sub_f32_e32 v40, v11, v33
	v_sub_f32_e32 v41, v12, v13
	v_add_f32_e32 v16, v16, v17
	v_add_f32_e32 v17, v34, v35
	v_sub_f32_e32 v33, v33, v18
	v_sub_f32_e32 v13, v13, v10
	;; [unrolled: 1-line block ×4, first 2 shown]
	v_add_f32_e32 v18, v38, v18
	v_add_f32_e32 v10, v39, v10
	;; [unrolled: 1-line block ×4, first 2 shown]
	v_mul_f32_e32 v14, 0x3f4a47b2, v14
	v_mul_f32_e32 v15, 0x3f4a47b2, v15
	v_mul_f32_e32 v34, 0x3d64c772, v19
	v_mul_f32_e32 v35, 0x3d64c772, v32
	v_mul_f32_e32 v38, 0x3f08b237, v40
	v_mul_f32_e32 v39, 0x3f08b237, v41
	v_mul_f32_e32 v40, 0xbf5ff5aa, v33
	v_mul_f32_e32 v41, 0xbf5ff5aa, v13
	v_fmamk_f32 v16, v16, 0xbf955555, v8
	v_fmamk_f32 v17, v17, 0xbf955555, v9
	;; [unrolled: 1-line block ×4, first 2 shown]
	v_fma_f32 v34, 0x3f3bfb3b, v36, -v34
	v_fma_f32 v35, 0x3f3bfb3b, v37, -v35
	;; [unrolled: 1-line block ×4, first 2 shown]
	v_fmamk_f32 v36, v11, 0xbeae86e6, v38
	v_fmamk_f32 v37, v12, 0xbeae86e6, v39
	v_fma_f32 v33, 0xbf5ff5aa, v33, -v38
	v_fma_f32 v38, 0xbf5ff5aa, v13, -v39
	;; [unrolled: 1-line block ×4, first 2 shown]
	v_add_f32_e32 v41, v19, v16
	v_add_f32_e32 v42, v32, v17
	v_fmac_f32_e32 v36, 0xbee1c552, v18
	v_fmac_f32_e32 v37, 0xbee1c552, v10
	v_add_f32_e32 v19, v34, v16
	v_add_f32_e32 v32, v35, v17
	;; [unrolled: 1-line block ×4, first 2 shown]
	v_fmac_f32_e32 v33, 0xbee1c552, v18
	v_fmac_f32_e32 v40, 0xbee1c552, v10
	;; [unrolled: 1-line block ×4, first 2 shown]
	v_add_f32_e32 v10, v37, v41
	v_sub_f32_e32 v11, v42, v36
	v_add_f32_e32 v12, v40, v34
	v_sub_f32_e32 v13, v35, v39
	v_sub_f32_e32 v14, v19, v38
	v_add_f32_e32 v15, v33, v32
	v_add_f32_e32 v16, v38, v19
	v_sub_f32_e32 v17, v32, v33
	v_sub_f32_e32 v18, v34, v40
	v_add_f32_e32 v19, v39, v35
	v_sub_f32_e32 v32, v41, v37
	v_add_f32_e32 v33, v36, v42
	ds_write2_b64 v109, v[8:9], v[10:11] offset1:242
	ds_write2_b64 v51, v[12:13], v[14:15] offset0:4 offset1:246
	ds_write2_b64 v50, v[16:17], v[18:19] offset0:8 offset1:250
	ds_write_b64 v109, v[32:33] offset:11616
	s_and_saveexec_b32 s1, s0
	s_cbranch_execz .LBB0_17
; %bb.16:
	v_mul_f32_e32 v8, v25, v3
	v_mul_f32_e32 v9, v23, v45
	;; [unrolled: 1-line block ×6, first 2 shown]
	v_fmac_f32_e32 v8, v24, v2
	v_mul_f32_e32 v2, v25, v2
	v_fmac_f32_e32 v9, v22, v44
	v_fmac_f32_e32 v10, v20, v6
	;; [unrolled: 1-line block ×5, first 2 shown]
	v_mul_f32_e32 v16, v31, v105
	v_mul_f32_e32 v25, v29, v46
	;; [unrolled: 1-line block ×3, first 2 shown]
	v_fma_f32 v2, v24, v3, -v2
	v_mul_f32_e32 v3, v21, v6
	v_mul_f32_e32 v6, v23, v44
	v_sub_f32_e32 v14, v9, v10
	v_sub_f32_e32 v15, v11, v12
	;; [unrolled: 1-line block ×3, first 2 shown]
	v_fma_f32 v16, v30, v106, -v16
	v_fma_f32 v21, v28, v47, -v25
	;; [unrolled: 1-line block ×5, first 2 shown]
	v_sub_f32_e32 v18, v14, v15
	v_sub_f32_e32 v19, v17, v14
	v_add_f32_e32 v5, v14, v15
	v_add_f32_e32 v14, v16, v2
	;; [unrolled: 1-line block ×8, first 2 shown]
	v_sub_f32_e32 v24, v14, v22
	v_sub_f32_e32 v6, v6, v3
	v_add_f32_e32 v10, v11, v8
	v_sub_f32_e32 v4, v4, v21
	v_add_f32_e32 v23, v22, v23
	v_mul_f32_e32 v13, 0x3f4a47b2, v24
	v_sub_f32_e32 v24, v8, v9
	v_sub_f32_e32 v2, v2, v16
	v_sub_f32_e32 v15, v15, v17
	v_mul_f32_e32 v18, 0x3f08b237, v18
	v_sub_f32_e32 v12, v22, v7
	v_add_f32_e32 v1, v1, v23
	v_add_f32_e32 v10, v9, v10
	v_mul_f32_e32 v21, 0x3f4a47b2, v24
	v_sub_f32_e32 v9, v9, v11
	v_sub_f32_e32 v3, v6, v4
	v_mul_f32_e32 v26, 0xbf5ff5aa, v15
	v_sub_f32_e32 v7, v7, v14
	v_sub_f32_e32 v8, v11, v8
	;; [unrolled: 1-line block ×3, first 2 shown]
	v_fmamk_f32 v20, v19, 0xbeae86e6, v18
	v_mul_f32_e32 v22, 0x3d64c772, v12
	v_fmamk_f32 v23, v23, 0xbf955555, v1
	v_add_f32_e32 v0, v0, v10
	v_fmamk_f32 v16, v9, 0x3d64c772, v21
	v_sub_f32_e32 v24, v2, v6
	v_mul_f32_e32 v25, 0x3f08b237, v3
	v_mul_f32_e32 v9, 0x3d64c772, v9
	v_add_f32_e32 v4, v6, v4
	v_fma_f32 v14, 0x3eae86e6, v19, -v26
	v_fma_f32 v6, 0xbf3bfb3b, v7, -v13
	v_mul_f32_e32 v19, 0xbf5ff5aa, v11
	v_add_f32_e32 v5, v5, v17
	v_fmamk_f32 v12, v12, 0x3d64c772, v13
	v_fmamk_f32 v10, v10, 0xbf955555, v0
	;; [unrolled: 1-line block ×3, first 2 shown]
	v_fma_f32 v13, 0xbf3bfb3b, v8, -v21
	v_add_f32_e32 v2, v4, v2
	v_add_f32_e32 v21, v6, v23
	v_fma_f32 v19, 0x3eae86e6, v24, -v19
	v_fma_f32 v4, 0x3f3bfb3b, v7, -v22
	;; [unrolled: 1-line block ×5, first 2 shown]
	v_fmac_f32_e32 v20, 0xbee1c552, v5
	v_add_f32_e32 v12, v12, v23
	v_add_f32_e32 v16, v16, v10
	v_fmac_f32_e32 v14, 0xbee1c552, v5
	v_add_f32_e32 v13, v13, v10
	v_fmac_f32_e32 v19, 0xbee1c552, v2
	;; [unrolled: 2-line block ×3, first 2 shown]
	v_fmac_f32_e32 v11, 0xbee1c552, v2
	v_add_f32_e32 v10, v6, v10
	v_fmac_f32_e32 v17, 0xbee1c552, v2
	v_add_f32_e32 v3, v20, v12
	v_add_f32_e32 v5, v14, v21
	v_sub_f32_e32 v4, v13, v19
	v_sub_f32_e32 v7, v8, v15
	v_add_f32_e32 v6, v11, v10
	v_add_f32_e32 v9, v15, v8
	v_sub_f32_e32 v8, v10, v11
	v_sub_f32_e32 v11, v21, v14
	v_add_f32_e32 v10, v19, v13
	v_sub_f32_e32 v13, v12, v20
	v_add_f32_e32 v12, v17, v16
	v_add_nc_u32_e32 v14, 0x480, v109
	v_add_nc_u32_e32 v15, 0x13c0, v109
	;; [unrolled: 1-line block ×3, first 2 shown]
	v_sub_f32_e32 v2, v16, v17
	ds_write2_b64 v14, v[0:1], v[12:13] offset0:10 offset1:252
	ds_write2_b64 v15, v[10:11], v[8:9] offset0:6 offset1:248
	;; [unrolled: 1-line block ×3, first 2 shown]
	ds_write_b64 v109, v[2:3] offset:12848
.LBB0_17:
	s_or_b32 exec_lo, exec_lo, s1
	s_waitcnt lgkmcnt(0)
	s_barrier
	buffer_gl0_inv
	ds_read2_b64 v[0:3], v109 offset1:154
	v_mad_u64_u32 v[20:21], null, s10, v68, 0
	v_mad_u64_u32 v[22:23], null, s8, v110, 0
	v_add_nc_u32_e32 v9, 0x1200, v109
	v_add_nc_u32_e32 v4, 0x800, v109
	s_mov_b32 s0, 0xe9078e5b
	s_mov_b32 s1, 0x3f4357f3
	v_mov_b32_e32 v8, v21
	v_add_nc_u32_e32 v12, 0x1c00, v109
	ds_read2_b64 v[4:7], v4 offset0:52 offset1:206
	v_add_nc_u32_e32 v16, 0x2400, v109
	s_mul_i32 s3, s9, 0x4d0
	s_mul_hi_u32 s4, s8, 0x4d0
	s_mul_i32 s2, s8, 0x4d0
	s_add_i32 s4, s4, s3
	s_waitcnt lgkmcnt(1)
	v_mul_f32_e32 v10, v70, v1
	v_mul_f32_e32 v11, v70, v0
	;; [unrolled: 1-line block ×3, first 2 shown]
	v_fmac_f32_e32 v10, v69, v0
	v_fma_f32 v1, v69, v1, -v11
	v_mov_b32_e32 v0, v23
	v_mad_u64_u32 v[23:24], null, s11, v68, v[8:9]
	v_cvt_f64_f32_e32 v[24:25], v10
	v_cvt_f64_f32_e32 v[26:27], v1
	v_mad_u64_u32 v[0:1], null, s9, v110, v[0:1]
	v_mul_f32_e32 v1, v72, v3
	s_waitcnt lgkmcnt(0)
	v_mul_f32_e32 v29, v90, v5
	v_mul_f32_e32 v30, v90, v4
	ds_read2_b64 v[8:11], v9 offset0:40 offset1:194
	v_mov_b32_e32 v21, v23
	v_fmac_f32_e32 v1, v71, v2
	v_fma_f32 v2, v71, v3, -v28
	v_fmac_f32_e32 v29, v89, v4
	v_fma_f32 v28, v89, v5, -v30
	v_mov_b32_e32 v23, v0
	v_cvt_f64_f32_e32 v[0:1], v1
	v_cvt_f64_f32_e32 v[2:3], v2
	;; [unrolled: 1-line block ×4, first 2 shown]
	v_lshlrev_b64 v[20:21], 3, v[20:21]
	v_mul_f32_e32 v31, v86, v6
	v_lshlrev_b64 v[22:23], 3, v[22:23]
	v_mul_f32_e32 v30, v86, v7
	v_mul_f64 v[24:25], v[24:25], s[0:1]
	v_mul_f64 v[26:27], v[26:27], s[0:1]
	v_fma_f32 v31, v85, v7, -v31
	v_add_co_u32 v35, vcc_lo, s12, v20
	s_waitcnt lgkmcnt(0)
	v_mul_f32_e32 v32, v88, v9
	v_mul_f32_e32 v33, v88, v8
	v_add_co_ci_u32_e32 v36, vcc_lo, s13, v21, vcc_lo
	ds_read2_b64 v[12:15], v12 offset0:28 offset1:182
	ds_read2_b64 v[16:19], v16 offset0:80 offset1:234
	v_fmac_f32_e32 v32, v87, v8
	v_fma_f32 v33, v87, v9, -v33
	v_fmac_f32_e32 v30, v85, v6
	v_cvt_f64_f32_e32 v[8:9], v31
	v_mul_f64 v[0:1], v[0:1], s[0:1]
	v_mul_f64 v[2:3], v[2:3], s[0:1]
	;; [unrolled: 1-line block ×4, first 2 shown]
	v_add_co_u32 v22, vcc_lo, v35, v22
	v_cvt_f64_f32_e32 v[28:29], v33
	v_add_co_ci_u32_e32 v23, vcc_lo, v36, v23, vcc_lo
	v_cvt_f32_f64_e32 v24, v[24:25]
	v_cvt_f32_f64_e32 v25, v[26:27]
	v_cvt_f64_f32_e32 v[26:27], v32
	v_cvt_f64_f32_e32 v[6:7], v30
	v_add_co_u32 v30, vcc_lo, v22, s2
	v_add_co_ci_u32_e32 v31, vcc_lo, s4, v23, vcc_lo
	v_mul_f32_e32 v34, v84, v11
	v_mul_f32_e32 v35, v84, v10
	s_waitcnt lgkmcnt(0)
	v_mul_f32_e32 v36, v80, v19
	v_mul_f32_e32 v37, v80, v18
	v_add_co_u32 v32, vcc_lo, v30, s2
	v_fmac_f32_e32 v34, v83, v10
	v_cvt_f32_f64_e32 v0, v[0:1]
	v_cvt_f32_f64_e32 v1, v[2:3]
	;; [unrolled: 1-line block ×4, first 2 shown]
	v_cvt_f64_f32_e32 v[20:21], v34
	v_mul_f32_e32 v34, v74, v17
	v_mul_f64 v[4:5], v[8:9], s[0:1]
	v_fmac_f32_e32 v36, v79, v18
	global_store_dwordx2 v[22:23], v[24:25], off
	ds_read_b64 v[22:23], v109 offset:12320
	v_fma_f32 v24, v83, v11, -v35
	v_mul_f64 v[8:9], v[26:27], s[0:1]
	v_mul_f32_e32 v26, v76, v13
	v_mul_f32_e32 v27, v76, v12
	v_mul_f64 v[10:11], v[28:29], s[0:1]
	v_mul_f32_e32 v28, v78, v15
	v_mul_f32_e32 v29, v78, v14
	v_fmac_f32_e32 v34, v73, v16
	v_mul_f32_e32 v16, v74, v16
	v_cvt_f64_f32_e32 v[24:25], v24
	v_fmac_f32_e32 v26, v75, v12
	v_fma_f32 v27, v75, v13, -v27
	v_fmac_f32_e32 v28, v77, v14
	v_fma_f32 v29, v77, v15, -v29
	v_fma_f32 v16, v73, v17, -v16
	;; [unrolled: 1-line block ×3, first 2 shown]
	v_cvt_f64_f32_e32 v[12:13], v26
	v_cvt_f64_f32_e32 v[14:15], v27
	;; [unrolled: 1-line block ×3, first 2 shown]
	s_waitcnt lgkmcnt(0)
	v_mul_f32_e32 v38, v82, v23
	v_mul_f32_e32 v39, v82, v22
	v_cvt_f64_f32_e32 v[28:29], v29
	v_cvt_f64_f32_e32 v[34:35], v34
	;; [unrolled: 1-line block ×3, first 2 shown]
	v_fmac_f32_e32 v38, v81, v22
	v_fma_f32 v39, v81, v23, -v39
	v_cvt_f64_f32_e32 v[18:19], v36
	v_cvt_f64_f32_e32 v[22:23], v37
	v_mul_f64 v[6:7], v[6:7], s[0:1]
	v_cvt_f64_f32_e32 v[36:37], v38
	v_cvt_f64_f32_e32 v[38:39], v39
	v_add_co_ci_u32_e32 v33, vcc_lo, s4, v31, vcc_lo
	global_store_dwordx2 v[30:31], v[0:1], off
	global_store_dwordx2 v[32:33], v[2:3], off
	v_cvt_f32_f64_e32 v1, v[4:5]
	v_mul_f64 v[2:3], v[20:21], s[0:1]
	v_mul_f64 v[4:5], v[24:25], s[0:1]
	;; [unrolled: 1-line block ×4, first 2 shown]
	v_cvt_f32_f64_e32 v8, v[8:9]
	v_cvt_f32_f64_e32 v9, v[10:11]
	v_mul_f64 v[10:11], v[26:27], s[0:1]
	v_mul_f64 v[20:21], v[28:29], s[0:1]
	;; [unrolled: 1-line block ×6, first 2 shown]
	v_cvt_f32_f64_e32 v0, v[6:7]
	v_mul_f64 v[26:27], v[36:37], s[0:1]
	v_mul_f64 v[28:29], v[38:39], s[0:1]
	v_add_co_u32 v6, vcc_lo, v32, s2
	v_add_co_ci_u32_e32 v7, vcc_lo, s4, v33, vcc_lo
	v_add_co_u32 v30, vcc_lo, v6, s2
	v_add_co_ci_u32_e32 v31, vcc_lo, s4, v7, vcc_lo
	v_cvt_f32_f64_e32 v2, v[2:3]
	v_cvt_f32_f64_e32 v3, v[4:5]
	v_add_co_u32 v4, vcc_lo, v30, s2
	v_add_co_ci_u32_e32 v5, vcc_lo, s4, v31, vcc_lo
	v_cvt_f32_f64_e32 v12, v[12:13]
	v_cvt_f32_f64_e32 v13, v[14:15]
	;; [unrolled: 4-line block ×3, first 2 shown]
	v_cvt_f32_f64_e32 v20, v[24:25]
	v_cvt_f32_f64_e32 v21, v[16:17]
	;; [unrolled: 1-line block ×6, first 2 shown]
	v_add_co_u32 v22, vcc_lo, v14, s2
	v_add_co_ci_u32_e32 v23, vcc_lo, s4, v15, vcc_lo
	global_store_dwordx2 v[6:7], v[0:1], off
	v_add_co_u32 v0, vcc_lo, v22, s2
	v_add_co_ci_u32_e32 v1, vcc_lo, s4, v23, vcc_lo
	global_store_dwordx2 v[30:31], v[8:9], off
	;; [unrolled: 3-line block ×4, first 2 shown]
	global_store_dwordx2 v[22:23], v[10:11], off
	global_store_dwordx2 v[0:1], v[20:21], off
	;; [unrolled: 1-line block ×4, first 2 shown]
.LBB0_18:
	s_endpgm
	.section	.rodata,"a",@progbits
	.p2align	6, 0x0
	.amdhsa_kernel bluestein_single_fwd_len1694_dim1_sp_op_CI_CI
		.amdhsa_group_segment_fixed_size 13552
		.amdhsa_private_segment_fixed_size 0
		.amdhsa_kernarg_size 104
		.amdhsa_user_sgpr_count 6
		.amdhsa_user_sgpr_private_segment_buffer 1
		.amdhsa_user_sgpr_dispatch_ptr 0
		.amdhsa_user_sgpr_queue_ptr 0
		.amdhsa_user_sgpr_kernarg_segment_ptr 1
		.amdhsa_user_sgpr_dispatch_id 0
		.amdhsa_user_sgpr_flat_scratch_init 0
		.amdhsa_user_sgpr_private_segment_size 0
		.amdhsa_wavefront_size32 1
		.amdhsa_uses_dynamic_stack 0
		.amdhsa_system_sgpr_private_segment_wavefront_offset 0
		.amdhsa_system_sgpr_workgroup_id_x 1
		.amdhsa_system_sgpr_workgroup_id_y 0
		.amdhsa_system_sgpr_workgroup_id_z 0
		.amdhsa_system_sgpr_workgroup_info 0
		.amdhsa_system_vgpr_workitem_id 0
		.amdhsa_next_free_vgpr 220
		.amdhsa_next_free_sgpr 20
		.amdhsa_reserve_vcc 1
		.amdhsa_reserve_flat_scratch 0
		.amdhsa_float_round_mode_32 0
		.amdhsa_float_round_mode_16_64 0
		.amdhsa_float_denorm_mode_32 3
		.amdhsa_float_denorm_mode_16_64 3
		.amdhsa_dx10_clamp 1
		.amdhsa_ieee_mode 1
		.amdhsa_fp16_overflow 0
		.amdhsa_workgroup_processor_mode 1
		.amdhsa_memory_ordered 1
		.amdhsa_forward_progress 0
		.amdhsa_shared_vgpr_count 0
		.amdhsa_exception_fp_ieee_invalid_op 0
		.amdhsa_exception_fp_denorm_src 0
		.amdhsa_exception_fp_ieee_div_zero 0
		.amdhsa_exception_fp_ieee_overflow 0
		.amdhsa_exception_fp_ieee_underflow 0
		.amdhsa_exception_fp_ieee_inexact 0
		.amdhsa_exception_int_div_zero 0
	.end_amdhsa_kernel
	.text
.Lfunc_end0:
	.size	bluestein_single_fwd_len1694_dim1_sp_op_CI_CI, .Lfunc_end0-bluestein_single_fwd_len1694_dim1_sp_op_CI_CI
                                        ; -- End function
	.section	.AMDGPU.csdata,"",@progbits
; Kernel info:
; codeLenInByte = 15864
; NumSgprs: 22
; NumVgprs: 220
; ScratchSize: 0
; MemoryBound: 0
; FloatMode: 240
; IeeeMode: 1
; LDSByteSize: 13552 bytes/workgroup (compile time only)
; SGPRBlocks: 2
; VGPRBlocks: 27
; NumSGPRsForWavesPerEU: 22
; NumVGPRsForWavesPerEU: 220
; Occupancy: 4
; WaveLimiterHint : 1
; COMPUTE_PGM_RSRC2:SCRATCH_EN: 0
; COMPUTE_PGM_RSRC2:USER_SGPR: 6
; COMPUTE_PGM_RSRC2:TRAP_HANDLER: 0
; COMPUTE_PGM_RSRC2:TGID_X_EN: 1
; COMPUTE_PGM_RSRC2:TGID_Y_EN: 0
; COMPUTE_PGM_RSRC2:TGID_Z_EN: 0
; COMPUTE_PGM_RSRC2:TIDIG_COMP_CNT: 0
	.text
	.p2alignl 6, 3214868480
	.fill 48, 4, 3214868480
	.type	__hip_cuid_5f9507a2b0de56ae,@object ; @__hip_cuid_5f9507a2b0de56ae
	.section	.bss,"aw",@nobits
	.globl	__hip_cuid_5f9507a2b0de56ae
__hip_cuid_5f9507a2b0de56ae:
	.byte	0                               ; 0x0
	.size	__hip_cuid_5f9507a2b0de56ae, 1

	.ident	"AMD clang version 19.0.0git (https://github.com/RadeonOpenCompute/llvm-project roc-6.4.0 25133 c7fe45cf4b819c5991fe208aaa96edf142730f1d)"
	.section	".note.GNU-stack","",@progbits
	.addrsig
	.addrsig_sym __hip_cuid_5f9507a2b0de56ae
	.amdgpu_metadata
---
amdhsa.kernels:
  - .args:
      - .actual_access:  read_only
        .address_space:  global
        .offset:         0
        .size:           8
        .value_kind:     global_buffer
      - .actual_access:  read_only
        .address_space:  global
        .offset:         8
        .size:           8
        .value_kind:     global_buffer
      - .actual_access:  read_only
        .address_space:  global
        .offset:         16
        .size:           8
        .value_kind:     global_buffer
      - .actual_access:  read_only
        .address_space:  global
        .offset:         24
        .size:           8
        .value_kind:     global_buffer
      - .actual_access:  read_only
        .address_space:  global
        .offset:         32
        .size:           8
        .value_kind:     global_buffer
      - .offset:         40
        .size:           8
        .value_kind:     by_value
      - .address_space:  global
        .offset:         48
        .size:           8
        .value_kind:     global_buffer
      - .address_space:  global
        .offset:         56
        .size:           8
        .value_kind:     global_buffer
      - .address_space:  global
        .offset:         64
        .size:           8
        .value_kind:     global_buffer
      - .address_space:  global
        .offset:         72
        .size:           8
        .value_kind:     global_buffer
      - .offset:         80
        .size:           4
        .value_kind:     by_value
      - .address_space:  global
        .offset:         88
        .size:           8
        .value_kind:     global_buffer
      - .address_space:  global
        .offset:         96
        .size:           8
        .value_kind:     global_buffer
    .group_segment_fixed_size: 13552
    .kernarg_segment_align: 8
    .kernarg_segment_size: 104
    .language:       OpenCL C
    .language_version:
      - 2
      - 0
    .max_flat_workgroup_size: 154
    .name:           bluestein_single_fwd_len1694_dim1_sp_op_CI_CI
    .private_segment_fixed_size: 0
    .sgpr_count:     22
    .sgpr_spill_count: 0
    .symbol:         bluestein_single_fwd_len1694_dim1_sp_op_CI_CI.kd
    .uniform_work_group_size: 1
    .uses_dynamic_stack: false
    .vgpr_count:     220
    .vgpr_spill_count: 0
    .wavefront_size: 32
    .workgroup_processor_mode: 1
amdhsa.target:   amdgcn-amd-amdhsa--gfx1030
amdhsa.version:
  - 1
  - 2
...

	.end_amdgpu_metadata
